;; amdgpu-corpus repo=ROCm/rocFFT kind=compiled arch=gfx1201 opt=O3
	.text
	.amdgcn_target "amdgcn-amd-amdhsa--gfx1201"
	.amdhsa_code_object_version 6
	.protected	fft_rtc_back_len1575_factors_3_3_5_7_5_wgs_63_tpt_63_halfLds_sp_op_CI_CI_unitstride_sbrr_dirReg ; -- Begin function fft_rtc_back_len1575_factors_3_3_5_7_5_wgs_63_tpt_63_halfLds_sp_op_CI_CI_unitstride_sbrr_dirReg
	.globl	fft_rtc_back_len1575_factors_3_3_5_7_5_wgs_63_tpt_63_halfLds_sp_op_CI_CI_unitstride_sbrr_dirReg
	.p2align	8
	.type	fft_rtc_back_len1575_factors_3_3_5_7_5_wgs_63_tpt_63_halfLds_sp_op_CI_CI_unitstride_sbrr_dirReg,@function
fft_rtc_back_len1575_factors_3_3_5_7_5_wgs_63_tpt_63_halfLds_sp_op_CI_CI_unitstride_sbrr_dirReg: ; @fft_rtc_back_len1575_factors_3_3_5_7_5_wgs_63_tpt_63_halfLds_sp_op_CI_CI_unitstride_sbrr_dirReg
; %bb.0:
	s_clause 0x2
	s_load_b128 s[8:11], s[0:1], 0x0
	s_load_b128 s[4:7], s[0:1], 0x58
	;; [unrolled: 1-line block ×3, first 2 shown]
	v_mul_u32_u24_e32 v1, 0x411, v0
	v_mov_b32_e32 v4, 0
	v_mov_b32_e32 v2, 0
	;; [unrolled: 1-line block ×3, first 2 shown]
	s_delay_alu instid0(VALU_DEP_4) | instskip(NEXT) | instid1(VALU_DEP_1)
	v_lshrrev_b32_e32 v1, 16, v1
	v_dual_mov_b32 v7, v4 :: v_dual_add_nc_u32 v6, ttmp9, v1
	s_wait_kmcnt 0x0
	v_cmp_lt_u64_e64 s2, s[10:11], 2
	s_delay_alu instid0(VALU_DEP_1)
	s_and_b32 vcc_lo, exec_lo, s2
	s_cbranch_vccnz .LBB0_8
; %bb.1:
	s_load_b64 s[2:3], s[0:1], 0x10
	v_mov_b32_e32 v2, 0
	v_mov_b32_e32 v3, 0
	s_add_nc_u64 s[16:17], s[14:15], 8
	s_add_nc_u64 s[18:19], s[12:13], 8
	s_mov_b64 s[20:21], 1
	s_delay_alu instid0(VALU_DEP_1)
	v_dual_mov_b32 v21, v3 :: v_dual_mov_b32 v20, v2
	s_wait_kmcnt 0x0
	s_add_nc_u64 s[22:23], s[2:3], 8
	s_mov_b32 s3, 0
.LBB0_2:                                ; =>This Inner Loop Header: Depth=1
	s_load_b64 s[24:25], s[22:23], 0x0
                                        ; implicit-def: $vgpr22_vgpr23
	s_mov_b32 s2, exec_lo
	s_wait_kmcnt 0x0
	v_or_b32_e32 v5, s25, v7
	s_delay_alu instid0(VALU_DEP_1)
	v_cmpx_ne_u64_e32 0, v[4:5]
	s_wait_alu 0xfffe
	s_xor_b32 s26, exec_lo, s2
	s_cbranch_execz .LBB0_4
; %bb.3:                                ;   in Loop: Header=BB0_2 Depth=1
	s_cvt_f32_u32 s2, s24
	s_cvt_f32_u32 s27, s25
	s_sub_nc_u64 s[30:31], 0, s[24:25]
	s_wait_alu 0xfffe
	s_delay_alu instid0(SALU_CYCLE_1) | instskip(SKIP_1) | instid1(SALU_CYCLE_2)
	s_fmamk_f32 s2, s27, 0x4f800000, s2
	s_wait_alu 0xfffe
	v_s_rcp_f32 s2, s2
	s_delay_alu instid0(TRANS32_DEP_1) | instskip(SKIP_1) | instid1(SALU_CYCLE_2)
	s_mul_f32 s2, s2, 0x5f7ffffc
	s_wait_alu 0xfffe
	s_mul_f32 s27, s2, 0x2f800000
	s_wait_alu 0xfffe
	s_delay_alu instid0(SALU_CYCLE_2) | instskip(SKIP_1) | instid1(SALU_CYCLE_2)
	s_trunc_f32 s27, s27
	s_wait_alu 0xfffe
	s_fmamk_f32 s2, s27, 0xcf800000, s2
	s_cvt_u32_f32 s29, s27
	s_wait_alu 0xfffe
	s_delay_alu instid0(SALU_CYCLE_1) | instskip(SKIP_1) | instid1(SALU_CYCLE_2)
	s_cvt_u32_f32 s28, s2
	s_wait_alu 0xfffe
	s_mul_u64 s[34:35], s[30:31], s[28:29]
	s_wait_alu 0xfffe
	s_mul_hi_u32 s37, s28, s35
	s_mul_i32 s36, s28, s35
	s_mul_hi_u32 s2, s28, s34
	s_mul_i32 s33, s29, s34
	s_wait_alu 0xfffe
	s_add_nc_u64 s[36:37], s[2:3], s[36:37]
	s_mul_hi_u32 s27, s29, s34
	s_mul_hi_u32 s38, s29, s35
	s_add_co_u32 s2, s36, s33
	s_wait_alu 0xfffe
	s_add_co_ci_u32 s2, s37, s27
	s_mul_i32 s34, s29, s35
	s_add_co_ci_u32 s35, s38, 0
	s_wait_alu 0xfffe
	s_add_nc_u64 s[34:35], s[2:3], s[34:35]
	s_wait_alu 0xfffe
	v_add_co_u32 v1, s2, s28, s34
	s_delay_alu instid0(VALU_DEP_1) | instskip(SKIP_1) | instid1(VALU_DEP_1)
	s_cmp_lg_u32 s2, 0
	s_add_co_ci_u32 s29, s29, s35
	v_readfirstlane_b32 s28, v1
	s_wait_alu 0xfffe
	s_delay_alu instid0(VALU_DEP_1)
	s_mul_u64 s[30:31], s[30:31], s[28:29]
	s_wait_alu 0xfffe
	s_mul_hi_u32 s35, s28, s31
	s_mul_i32 s34, s28, s31
	s_mul_hi_u32 s2, s28, s30
	s_mul_i32 s33, s29, s30
	s_wait_alu 0xfffe
	s_add_nc_u64 s[34:35], s[2:3], s[34:35]
	s_mul_hi_u32 s27, s29, s30
	s_mul_hi_u32 s28, s29, s31
	s_wait_alu 0xfffe
	s_add_co_u32 s2, s34, s33
	s_add_co_ci_u32 s2, s35, s27
	s_mul_i32 s30, s29, s31
	s_add_co_ci_u32 s31, s28, 0
	s_wait_alu 0xfffe
	s_add_nc_u64 s[30:31], s[2:3], s[30:31]
	s_wait_alu 0xfffe
	v_add_co_u32 v1, s2, v1, s30
	s_delay_alu instid0(VALU_DEP_1) | instskip(SKIP_1) | instid1(VALU_DEP_1)
	s_cmp_lg_u32 s2, 0
	s_add_co_ci_u32 s2, s29, s31
	v_mul_hi_u32 v5, v6, v1
	s_wait_alu 0xfffe
	v_mad_co_u64_u32 v[8:9], null, v6, s2, 0
	v_mad_co_u64_u32 v[10:11], null, v7, v1, 0
	;; [unrolled: 1-line block ×3, first 2 shown]
	s_delay_alu instid0(VALU_DEP_3) | instskip(SKIP_1) | instid1(VALU_DEP_4)
	v_add_co_u32 v1, vcc_lo, v5, v8
	s_wait_alu 0xfffd
	v_add_co_ci_u32_e32 v5, vcc_lo, 0, v9, vcc_lo
	s_delay_alu instid0(VALU_DEP_2) | instskip(SKIP_1) | instid1(VALU_DEP_2)
	v_add_co_u32 v1, vcc_lo, v1, v10
	s_wait_alu 0xfffd
	v_add_co_ci_u32_e32 v1, vcc_lo, v5, v11, vcc_lo
	s_wait_alu 0xfffd
	v_add_co_ci_u32_e32 v5, vcc_lo, 0, v13, vcc_lo
	s_delay_alu instid0(VALU_DEP_2) | instskip(SKIP_1) | instid1(VALU_DEP_2)
	v_add_co_u32 v1, vcc_lo, v1, v12
	s_wait_alu 0xfffd
	v_add_co_ci_u32_e32 v5, vcc_lo, 0, v5, vcc_lo
	s_delay_alu instid0(VALU_DEP_2) | instskip(SKIP_1) | instid1(VALU_DEP_3)
	v_mul_lo_u32 v10, s25, v1
	v_mad_co_u64_u32 v[8:9], null, s24, v1, 0
	v_mul_lo_u32 v11, s24, v5
	s_delay_alu instid0(VALU_DEP_2) | instskip(NEXT) | instid1(VALU_DEP_2)
	v_sub_co_u32 v8, vcc_lo, v6, v8
	v_add3_u32 v9, v9, v11, v10
	s_delay_alu instid0(VALU_DEP_1) | instskip(SKIP_1) | instid1(VALU_DEP_1)
	v_sub_nc_u32_e32 v10, v7, v9
	s_wait_alu 0xfffd
	v_subrev_co_ci_u32_e64 v10, s2, s25, v10, vcc_lo
	v_add_co_u32 v11, s2, v1, 2
	s_wait_alu 0xf1ff
	v_add_co_ci_u32_e64 v12, s2, 0, v5, s2
	v_sub_co_u32 v13, s2, v8, s24
	v_sub_co_ci_u32_e32 v9, vcc_lo, v7, v9, vcc_lo
	s_wait_alu 0xf1ff
	v_subrev_co_ci_u32_e64 v10, s2, 0, v10, s2
	s_delay_alu instid0(VALU_DEP_3) | instskip(NEXT) | instid1(VALU_DEP_3)
	v_cmp_le_u32_e32 vcc_lo, s24, v13
	v_cmp_eq_u32_e64 s2, s25, v9
	s_wait_alu 0xfffd
	v_cndmask_b32_e64 v13, 0, -1, vcc_lo
	v_cmp_le_u32_e32 vcc_lo, s25, v10
	s_wait_alu 0xfffd
	v_cndmask_b32_e64 v14, 0, -1, vcc_lo
	v_cmp_le_u32_e32 vcc_lo, s24, v8
	;; [unrolled: 3-line block ×3, first 2 shown]
	s_wait_alu 0xfffd
	v_cndmask_b32_e64 v15, 0, -1, vcc_lo
	v_cmp_eq_u32_e32 vcc_lo, s25, v10
	s_wait_alu 0xf1ff
	s_delay_alu instid0(VALU_DEP_2)
	v_cndmask_b32_e64 v8, v15, v8, s2
	s_wait_alu 0xfffd
	v_cndmask_b32_e32 v10, v14, v13, vcc_lo
	v_add_co_u32 v13, vcc_lo, v1, 1
	s_wait_alu 0xfffd
	v_add_co_ci_u32_e32 v14, vcc_lo, 0, v5, vcc_lo
	s_delay_alu instid0(VALU_DEP_3) | instskip(SKIP_1) | instid1(VALU_DEP_2)
	v_cmp_ne_u32_e32 vcc_lo, 0, v10
	s_wait_alu 0xfffd
	v_dual_cndmask_b32 v9, v14, v12 :: v_dual_cndmask_b32 v10, v13, v11
	v_cmp_ne_u32_e32 vcc_lo, 0, v8
	s_wait_alu 0xfffd
	s_delay_alu instid0(VALU_DEP_2) | instskip(NEXT) | instid1(VALU_DEP_3)
	v_cndmask_b32_e32 v23, v5, v9, vcc_lo
	v_cndmask_b32_e32 v22, v1, v10, vcc_lo
.LBB0_4:                                ;   in Loop: Header=BB0_2 Depth=1
	s_wait_alu 0xfffe
	s_and_not1_saveexec_b32 s2, s26
	s_cbranch_execz .LBB0_6
; %bb.5:                                ;   in Loop: Header=BB0_2 Depth=1
	v_cvt_f32_u32_e32 v1, s24
	s_sub_co_i32 s26, 0, s24
	v_mov_b32_e32 v23, v4
	s_delay_alu instid0(VALU_DEP_2) | instskip(NEXT) | instid1(TRANS32_DEP_1)
	v_rcp_iflag_f32_e32 v1, v1
	v_mul_f32_e32 v1, 0x4f7ffffe, v1
	s_delay_alu instid0(VALU_DEP_1) | instskip(SKIP_1) | instid1(VALU_DEP_1)
	v_cvt_u32_f32_e32 v1, v1
	s_wait_alu 0xfffe
	v_mul_lo_u32 v5, s26, v1
	s_delay_alu instid0(VALU_DEP_1) | instskip(NEXT) | instid1(VALU_DEP_1)
	v_mul_hi_u32 v5, v1, v5
	v_add_nc_u32_e32 v1, v1, v5
	s_delay_alu instid0(VALU_DEP_1) | instskip(NEXT) | instid1(VALU_DEP_1)
	v_mul_hi_u32 v1, v6, v1
	v_mul_lo_u32 v5, v1, s24
	v_add_nc_u32_e32 v8, 1, v1
	s_delay_alu instid0(VALU_DEP_2) | instskip(NEXT) | instid1(VALU_DEP_1)
	v_sub_nc_u32_e32 v5, v6, v5
	v_subrev_nc_u32_e32 v9, s24, v5
	v_cmp_le_u32_e32 vcc_lo, s24, v5
	s_wait_alu 0xfffd
	s_delay_alu instid0(VALU_DEP_2) | instskip(SKIP_1) | instid1(VALU_DEP_2)
	v_cndmask_b32_e32 v5, v5, v9, vcc_lo
	v_cndmask_b32_e32 v1, v1, v8, vcc_lo
	v_cmp_le_u32_e32 vcc_lo, s24, v5
	s_delay_alu instid0(VALU_DEP_2) | instskip(SKIP_1) | instid1(VALU_DEP_1)
	v_add_nc_u32_e32 v8, 1, v1
	s_wait_alu 0xfffd
	v_cndmask_b32_e32 v22, v1, v8, vcc_lo
.LBB0_6:                                ;   in Loop: Header=BB0_2 Depth=1
	s_wait_alu 0xfffe
	s_or_b32 exec_lo, exec_lo, s2
	v_mul_lo_u32 v1, v23, s24
	s_delay_alu instid0(VALU_DEP_2)
	v_mul_lo_u32 v5, v22, s25
	s_load_b64 s[26:27], s[18:19], 0x0
	v_mad_co_u64_u32 v[8:9], null, v22, s24, 0
	s_load_b64 s[24:25], s[16:17], 0x0
	s_add_nc_u64 s[20:21], s[20:21], 1
	s_add_nc_u64 s[16:17], s[16:17], 8
	s_wait_alu 0xfffe
	v_cmp_ge_u64_e64 s2, s[20:21], s[10:11]
	s_add_nc_u64 s[18:19], s[18:19], 8
	s_add_nc_u64 s[22:23], s[22:23], 8
	v_add3_u32 v1, v9, v5, v1
	v_sub_co_u32 v5, vcc_lo, v6, v8
	s_wait_alu 0xfffd
	s_delay_alu instid0(VALU_DEP_2) | instskip(SKIP_2) | instid1(VALU_DEP_1)
	v_sub_co_ci_u32_e32 v1, vcc_lo, v7, v1, vcc_lo
	s_and_b32 vcc_lo, exec_lo, s2
	s_wait_kmcnt 0x0
	v_mul_lo_u32 v6, s26, v1
	v_mul_lo_u32 v7, s27, v5
	v_mad_co_u64_u32 v[2:3], null, s26, v5, v[2:3]
	v_mul_lo_u32 v1, s24, v1
	v_mul_lo_u32 v8, s25, v5
	v_mad_co_u64_u32 v[20:21], null, s24, v5, v[20:21]
	s_delay_alu instid0(VALU_DEP_4) | instskip(NEXT) | instid1(VALU_DEP_2)
	v_add3_u32 v3, v7, v3, v6
	v_add3_u32 v21, v8, v21, v1
	s_wait_alu 0xfffe
	s_cbranch_vccnz .LBB0_9
; %bb.7:                                ;   in Loop: Header=BB0_2 Depth=1
	v_dual_mov_b32 v6, v22 :: v_dual_mov_b32 v7, v23
	s_branch .LBB0_2
.LBB0_8:
	v_dual_mov_b32 v21, v3 :: v_dual_mov_b32 v20, v2
	v_dual_mov_b32 v23, v7 :: v_dual_mov_b32 v22, v6
.LBB0_9:
	s_load_b64 s[0:1], s[0:1], 0x28
	v_mul_hi_u32 v4, 0x4104105, v0
	s_lshl_b64 s[10:11], s[10:11], 3
                                        ; implicit-def: $vgpr81
	s_wait_alu 0xfffe
	s_add_nc_u64 s[2:3], s[14:15], s[10:11]
	s_wait_kmcnt 0x0
	v_cmp_gt_u64_e32 vcc_lo, s[0:1], v[22:23]
	v_cmp_le_u64_e64 s0, s[0:1], v[22:23]
	s_delay_alu instid0(VALU_DEP_1)
	s_and_saveexec_b32 s1, s0
	s_wait_alu 0xfffe
	s_xor_b32 s0, exec_lo, s1
; %bb.10:
	v_mul_u32_u24_e32 v1, 63, v4
                                        ; implicit-def: $vgpr4
                                        ; implicit-def: $vgpr2_vgpr3
	s_delay_alu instid0(VALU_DEP_1)
	v_sub_nc_u32_e32 v81, v0, v1
                                        ; implicit-def: $vgpr0
; %bb.11:
	s_wait_alu 0xfffe
	s_or_saveexec_b32 s1, s0
	s_load_b64 s[2:3], s[2:3], 0x0
                                        ; implicit-def: $vgpr10
                                        ; implicit-def: $vgpr78
                                        ; implicit-def: $vgpr76
                                        ; implicit-def: $vgpr72
                                        ; implicit-def: $vgpr68
                                        ; implicit-def: $vgpr70
                                        ; implicit-def: $vgpr12
                                        ; implicit-def: $vgpr60
                                        ; implicit-def: $vgpr64
                                        ; implicit-def: $vgpr38
                                        ; implicit-def: $vgpr54
                                        ; implicit-def: $vgpr14
                                        ; implicit-def: $vgpr16
                                        ; implicit-def: $vgpr46
                                        ; implicit-def: $vgpr48
                                        ; implicit-def: $vgpr52
                                        ; implicit-def: $vgpr50
                                        ; implicit-def: $vgpr1
                                        ; implicit-def: $vgpr58
                                        ; implicit-def: $vgpr56
                                        ; implicit-def: $vgpr62
                                        ; implicit-def: $vgpr74
                                        ; implicit-def: $vgpr44
                                        ; implicit-def: $vgpr66
                                        ; implicit-def: $vgpr40
                                        ; implicit-def: $vgpr80
                                        ; implicit-def: $vgpr42
	s_xor_b32 exec_lo, exec_lo, s1
	s_cbranch_execz .LBB0_15
; %bb.12:
	s_add_nc_u64 s[10:11], s[12:13], s[10:11]
                                        ; implicit-def: $vgpr49
                                        ; implicit-def: $vgpr51
	s_load_b64 s[10:11], s[10:11], 0x0
	s_wait_kmcnt 0x0
	v_mul_lo_u32 v1, s11, v22
	v_mul_lo_u32 v7, s10, v23
	v_mad_co_u64_u32 v[5:6], null, s10, v22, 0
	s_delay_alu instid0(VALU_DEP_1) | instskip(SKIP_2) | instid1(VALU_DEP_3)
	v_add3_u32 v6, v6, v7, v1
	v_mul_u32_u24_e32 v7, 63, v4
	v_lshlrev_b64_e32 v[1:2], 3, v[2:3]
	v_lshlrev_b64_e32 v[4:5], 3, v[5:6]
	s_delay_alu instid0(VALU_DEP_3) | instskip(NEXT) | instid1(VALU_DEP_2)
	v_sub_nc_u32_e32 v81, v0, v7
	v_add_co_u32 v0, s0, s4, v4
	s_wait_alu 0xf1ff
	s_delay_alu instid0(VALU_DEP_3) | instskip(NEXT) | instid1(VALU_DEP_3)
	v_add_co_ci_u32_e64 v3, s0, s5, v5, s0
	v_lshlrev_b32_e32 v4, 3, v81
	s_delay_alu instid0(VALU_DEP_3) | instskip(SKIP_1) | instid1(VALU_DEP_3)
	v_add_co_u32 v0, s0, v0, v1
	s_wait_alu 0xf1ff
	v_add_co_ci_u32_e64 v1, s0, v3, v2, s0
	s_mov_b32 s4, exec_lo
	s_delay_alu instid0(VALU_DEP_2) | instskip(SKIP_1) | instid1(VALU_DEP_2)
	v_add_co_u32 v2, s0, v0, v4
	s_wait_alu 0xf1ff
	v_add_co_ci_u32_e64 v3, s0, 0, v1, s0
                                        ; implicit-def: $vgpr0
	s_clause 0x17
	global_load_b64 v[9:10], v[2:3], off
	global_load_b64 v[41:42], v[2:3], off offset:504
	global_load_b64 v[39:40], v[2:3], off offset:1008
	;; [unrolled: 1-line block ×23, first 2 shown]
	v_cmpx_gt_u32_e32 21, v81
; %bb.13:
	s_clause 0x2
	global_load_b64 v[0:1], v[2:3], off offset:4032
	global_load_b64 v[51:52], v[2:3], off offset:8232
	;; [unrolled: 1-line block ×3, first 2 shown]
; %bb.14:
	s_wait_alu 0xfffe
	s_or_b32 exec_lo, exec_lo, s4
.LBB0_15:
	s_delay_alu instid0(SALU_CYCLE_1)
	s_or_b32 exec_lo, exec_lo, s1
	s_wait_loadcnt 0xe
	v_add_f32_e32 v5, v79, v71
	v_add_f32_e32 v2, v77, v75
	v_dual_add_f32 v3, v9, v77 :: v_dual_sub_f32 v4, v78, v76
	v_add_f32_e32 v17, v65, v11
	s_wait_loadcnt 0x1
	v_add_f32_e32 v27, v57, v55
	v_dual_fmac_f32 v9, -0.5, v2 :: v_dual_add_f32 v2, v41, v71
	v_add_f32_e32 v6, v67, v69
	v_fmac_f32_e32 v41, -0.5, v5
	v_add_f32_e32 v3, v3, v75
	s_delay_alu instid0(VALU_DEP_4)
	v_fmamk_f32 v5, v4, 0xbf5db3d7, v9
	v_dual_fmac_f32 v9, 0x3f5db3d7, v4 :: v_dual_add_f32 v2, v79, v2
	v_dual_sub_f32 v4, v72, v80 :: v_dual_add_f32 v7, v39, v67
	v_fmac_f32_e32 v39, -0.5, v6
	v_sub_f32_e32 v6, v68, v70
	v_mad_u32_u24 v83, v81, 12, 0
	s_delay_alu instid0(VALU_DEP_4) | instskip(SKIP_1) | instid1(VALU_DEP_4)
	v_fmamk_f32 v8, v4, 0xbf5db3d7, v41
	v_dual_fmac_f32 v41, 0x3f5db3d7, v4 :: v_dual_add_f32 v4, v7, v69
	v_dual_add_f32 v7, v65, v59 :: v_dual_fmamk_f32 v18, v6, 0xbf5db3d7, v39
	s_wait_loadcnt 0x0
	v_add_f32_e32 v29, v45, v47
	v_cmp_gt_u32_e64 s0, 21, v81
	v_add_nc_u32_e32 v84, 0x5e8, v83
	v_fmac_f32_e32 v11, -0.5, v7
	v_sub_f32_e32 v7, v66, v60
	v_add_f32_e32 v19, v17, v59
	s_delay_alu instid0(VALU_DEP_2) | instskip(SKIP_1) | instid1(VALU_DEP_2)
	v_dual_add_f32 v17, v73, v43 :: v_dual_fmamk_f32 v24, v7, 0xbf5db3d7, v11
	v_fmac_f32_e32 v11, 0x3f5db3d7, v7
	v_add_f32_e32 v7, v17, v63
	v_add_f32_e32 v17, v37, v53
	v_dual_fmac_f32 v39, 0x3f5db3d7, v6 :: v_dual_add_f32 v6, v73, v63
	ds_store_2addr_b32 v83, v9, v41 offset0:2 offset1:191
	v_add_nc_u32_e32 v9, 0x500, v83
	v_add_nc_u32_e32 v41, 0xbd0, v83
	v_dual_fmac_f32 v43, -0.5, v6 :: v_dual_sub_f32 v6, v74, v64
	s_delay_alu instid0(VALU_DEP_1)
	v_fmamk_f32 v26, v6, 0xbf5db3d7, v43
	v_dual_fmac_f32 v43, 0x3f5db3d7, v6 :: v_dual_add_f32 v6, v17, v61
	v_add_f32_e32 v17, v55, v13
	v_fmac_f32_e32 v13, -0.5, v27
	v_sub_f32_e32 v27, v56, v58
	v_add_f32_e32 v25, v61, v53
	ds_store_2addr_b32 v9, v39, v11 offset0:60 offset1:249
	v_add_nc_u32_e32 v9, 0xec8, v83
	v_fmamk_f32 v30, v27, 0xbf5db3d7, v13
	v_fmac_f32_e32 v37, -0.5, v25
	v_sub_f32_e32 v25, v54, v62
	v_fmac_f32_e32 v13, 0x3f5db3d7, v27
	s_delay_alu instid0(VALU_DEP_2)
	v_dual_add_f32 v27, v51, v49 :: v_dual_fmamk_f32 v28, v25, 0xbf5db3d7, v37
	v_fmac_f32_e32 v37, 0x3f5db3d7, v25
	v_add_f32_e32 v25, v57, v17
	v_add_f32_e32 v17, v15, v45
	v_fmac_f32_e32 v15, -0.5, v29
	v_dual_add_f32 v29, v51, v0 :: v_dual_fmac_f32 v0, -0.5, v27
	v_sub_f32_e32 v27, v52, v50
	s_delay_alu instid0(VALU_DEP_4) | instskip(SKIP_1) | instid1(VALU_DEP_3)
	v_add_f32_e32 v31, v17, v47
	v_sub_f32_e32 v17, v46, v48
	v_dual_add_f32 v85, v49, v29 :: v_dual_fmamk_f32 v86, v27, 0xbf5db3d7, v0
	v_fmac_f32_e32 v0, 0x3f5db3d7, v27
	s_delay_alu instid0(VALU_DEP_3)
	v_fmamk_f32 v32, v17, 0xbf5db3d7, v15
	v_fmac_f32_e32 v15, 0x3f5db3d7, v17
	v_add_nc_u32_e32 v17, 0x8dc, v83
	ds_store_2addr_b32 v17, v19, v24 offset1:1
	v_add_nc_u32_e32 v19, 0xb00, v83
	v_add_nc_u32_e32 v11, 0xec4, v17
	ds_store_2addr_b32 v84, v4, v18 offset1:1
	ds_store_2addr_b32 v41, v7, v26 offset1:1
	ds_store_2addr_b32 v19, v43, v6 offset0:54 offset1:241
	ds_store_2addr_b32 v83, v3, v5 offset1:1
	ds_store_2addr_b32 v83, v2, v8 offset0:189 offset1:190
	ds_store_2addr_b32 v9, v28, v37 offset1:1
	v_add_nc_u32_e32 v2, 0x11bc, v83
	v_add_nc_u32_e32 v3, 0x14b0, v83
	ds_store_b32 v83, v25 offset:4536
	ds_store_2addr_b32 v2, v30, v13 offset1:1
	ds_store_b32 v83, v31 offset:5292
	ds_store_2addr_b32 v3, v32, v15 offset1:1
	s_and_saveexec_b32 s1, s0
	s_cbranch_execz .LBB0_17
; %bb.16:
	ds_store_2addr_b32 v11, v85, v86 offset1:1
	ds_store_b32 v17, v0 offset:3788
.LBB0_17:
	s_wait_alu 0xfffe
	s_or_b32 exec_lo, exec_lo, s1
	v_lshl_add_u32 v82, v81, 2, 0
	global_wb scope:SCOPE_SE
	s_wait_dscnt 0x0
	s_wait_kmcnt 0x0
	s_barrier_signal -1
	s_barrier_wait -1
	global_inv scope:SCOPE_SE
	v_add_nc_u32_e32 v6, 0x800, v82
	v_add_nc_u32_e32 v7, 0x1000, v82
	;; [unrolled: 1-line block ×3, first 2 shown]
	ds_load_2addr_b32 v[4:5], v82 offset1:63
	ds_load_2addr_b32 v[2:3], v82 offset0:126 offset1:189
	ds_load_2addr_b32 v[36:37], v6 offset0:13 offset1:76
	;; [unrolled: 1-line block ×4, first 2 shown]
	v_add_nc_u32_e32 v6, 0x200, v82
	v_add_nc_u32_e32 v15, 0x1400, v82
	;; [unrolled: 1-line block ×3, first 2 shown]
	ds_load_2addr_b32 v[32:33], v7 offset0:152 offset1:215
	ds_load_2addr_b32 v[8:9], v6 offset0:124 offset1:187
	;; [unrolled: 1-line block ×7, first 2 shown]
	s_and_saveexec_b32 s1, s0
	s_cbranch_execz .LBB0_19
; %bb.18:
	ds_load_b32 v85, v82 offset:2016
	ds_load_b32 v86, v82 offset:4116
	;; [unrolled: 1-line block ×3, first 2 shown]
.LBB0_19:
	s_wait_alu 0xfffe
	s_or_b32 exec_lo, exec_lo, s1
	v_add_f32_e32 v13, v78, v76
	v_add_f32_e32 v15, v10, v78
	v_sub_f32_e32 v39, v77, v75
	v_sub_f32_e32 v67, v67, v69
	s_delay_alu instid0(VALU_DEP_4)
	v_dual_sub_f32 v63, v73, v63 :: v_dual_fmac_f32 v10, -0.5, v13
	v_add_f32_e32 v43, v80, v72
	v_dual_add_f32 v13, v42, v72 :: v_dual_add_f32 v72, v68, v70
	v_add_f32_e32 v68, v40, v68
	global_wb scope:SCOPE_SE
	s_wait_dscnt 0x0
	v_fmac_f32_e32 v42, -0.5, v43
	v_fmamk_f32 v43, v39, 0x3f5db3d7, v10
	v_fmac_f32_e32 v10, 0xbf5db3d7, v39
	v_dual_sub_f32 v39, v71, v79 :: v_dual_fmac_f32 v40, -0.5, v72
	v_add_f32_e32 v15, v15, v76
	s_barrier_signal -1
	s_barrier_wait -1
	s_delay_alu instid0(VALU_DEP_2)
	v_fmamk_f32 v69, v39, 0x3f5db3d7, v42
	v_dual_fmac_f32 v42, 0xbf5db3d7, v39 :: v_dual_add_f32 v39, v68, v70
	v_add_f32_e32 v68, v66, v60
	v_dual_add_f32 v66, v66, v12 :: v_dual_add_f32 v13, v80, v13
	v_fmamk_f32 v70, v67, 0x3f5db3d7, v40
	v_fmac_f32_e32 v40, 0xbf5db3d7, v67
	s_delay_alu instid0(VALU_DEP_4)
	v_dual_fmac_f32 v12, -0.5, v68 :: v_dual_sub_f32 v59, v65, v59
	v_add_f32_e32 v67, v74, v64
	v_add_f32_e32 v60, v66, v60
	global_inv scope:SCOPE_SE
	ds_store_2addr_b32 v83, v15, v43 offset1:1
	ds_store_2addr_b32 v83, v13, v69 offset0:189 offset1:190
	v_dual_fmamk_f32 v66, v59, 0x3f5db3d7, v12 :: v_dual_add_f32 v65, v74, v44
	v_fmac_f32_e32 v44, -0.5, v67
	v_dual_fmac_f32 v12, 0xbf5db3d7, v59 :: v_dual_sub_f32 v53, v53, v61
	v_sub_f32_e32 v55, v55, v57
	s_delay_alu instid0(VALU_DEP_4) | instskip(NEXT) | instid1(VALU_DEP_4)
	v_dual_add_f32 v59, v65, v64 :: v_dual_add_f32 v64, v62, v54
	v_dual_fmamk_f32 v65, v63, 0x3f5db3d7, v44 :: v_dual_add_f32 v54, v38, v54
	v_dual_fmac_f32 v44, 0xbf5db3d7, v63 :: v_dual_add_f32 v63, v58, v56
	s_delay_alu instid0(VALU_DEP_3) | instskip(NEXT) | instid1(VALU_DEP_3)
	v_dual_fmac_f32 v38, -0.5, v64 :: v_dual_sub_f32 v45, v45, v47
	v_add_f32_e32 v61, v54, v62
	v_add_f32_e32 v54, v56, v14
	s_delay_alu instid0(VALU_DEP_4) | instskip(NEXT) | instid1(VALU_DEP_4)
	v_fmac_f32_e32 v14, -0.5, v63
	v_fmamk_f32 v56, v53, 0x3f5db3d7, v38
	v_fmac_f32_e32 v38, 0xbf5db3d7, v53
	v_add_f32_e32 v47, v52, v1
	s_delay_alu instid0(VALU_DEP_4)
	v_dual_add_f32 v53, v58, v54 :: v_dual_fmamk_f32 v58, v55, 0x3f5db3d7, v14
	v_dual_fmac_f32 v14, 0xbf5db3d7, v55 :: v_dual_sub_f32 v49, v51, v49
	v_dual_add_f32 v55, v52, v50 :: v_dual_add_f32 v54, v46, v48
	v_add_f32_e32 v46, v16, v46
	ds_store_2addr_b32 v83, v10, v42 offset0:2 offset1:191
	v_add_nc_u32_e32 v10, 0xb00, v83
	v_dual_fmac_f32 v1, -0.5, v55 :: v_dual_fmac_f32 v16, -0.5, v54
	v_dual_add_f32 v46, v46, v48 :: v_dual_add_nc_u32 v13, 0x500, v83
	s_delay_alu instid0(VALU_DEP_2)
	v_dual_add_f32 v54, v50, v47 :: v_dual_fmamk_f32 v57, v49, 0x3f5db3d7, v1
	v_fmac_f32_e32 v1, 0xbf5db3d7, v49
	ds_store_2addr_b32 v84, v39, v70 offset1:1
	ds_store_2addr_b32 v17, v60, v66 offset1:1
	ds_store_2addr_b32 v13, v40, v12 offset0:60 offset1:249
	v_add_nc_u32_e32 v12, 0xec4, v83
	ds_store_2addr_b32 v10, v44, v38 offset0:54 offset1:243
	v_add_nc_u32_e32 v10, 0x11b8, v83
	v_fmamk_f32 v48, v45, 0x3f5db3d7, v16
	v_add_nc_u32_e32 v13, 0x14ac, v83
	v_fmac_f32_e32 v16, 0xbf5db3d7, v45
	v_add_nc_u32_e32 v15, 0x1100, v83
	ds_store_2addr_b32 v41, v59, v65 offset1:1
	ds_store_2addr_b32 v12, v61, v56 offset1:1
	;; [unrolled: 1-line block ×4, first 2 shown]
	ds_store_2addr_b32 v15, v14, v16 offset0:48 offset1:237
	s_and_saveexec_b32 s1, s0
	s_cbranch_execz .LBB0_21
; %bb.20:
	ds_store_2addr_b32 v11, v54, v57 offset1:1
	ds_store_b32 v17, v1 offset:3788
.LBB0_21:
	s_wait_alu 0xfffe
	s_or_b32 exec_lo, exec_lo, s1
	v_add_nc_u32_e32 v14, 0x800, v82
	v_add_nc_u32_e32 v15, 0x1000, v82
	global_wb scope:SCOPE_SE
	s_wait_dscnt 0x0
	s_barrier_signal -1
	s_barrier_wait -1
	global_inv scope:SCOPE_SE
	ds_load_2addr_b32 v[12:13], v82 offset1:63
	ds_load_2addr_b32 v[52:53], v14 offset0:13 offset1:76
	ds_load_2addr_b32 v[50:51], v15 offset0:26 offset1:89
	;; [unrolled: 1-line block ×4, first 2 shown]
	v_add_nc_u32_e32 v14, 0x200, v82
	v_add_nc_u32_e32 v38, 0xc00, v82
	;; [unrolled: 1-line block ×4, first 2 shown]
	ds_load_2addr_b32 v[48:49], v15 offset0:152 offset1:215
	ds_load_2addr_b32 v[16:17], v14 offset0:124 offset1:187
	;; [unrolled: 1-line block ×7, first 2 shown]
	s_and_saveexec_b32 s1, s0
	s_cbranch_execz .LBB0_23
; %bb.22:
	ds_load_b32 v54, v82 offset:2016
	ds_load_b32 v57, v82 offset:4116
	;; [unrolled: 1-line block ×3, first 2 shown]
.LBB0_23:
	s_wait_alu 0xfffe
	s_or_b32 exec_lo, exec_lo, s1
	v_add_nc_u32_e32 v76, 63, v81
	v_and_b32_e32 v56, 0xff, v81
	v_add_nc_u32_e32 v78, 0xbd, v81
	v_add_nc_u32_e32 v109, 0x1f8, v81
	s_delay_alu instid0(VALU_DEP_4) | instskip(NEXT) | instid1(VALU_DEP_4)
	v_and_b32_e32 v84, 0xff, v76
	v_mul_lo_u16 v55, 0xab, v56
	s_delay_alu instid0(VALU_DEP_4) | instskip(NEXT) | instid1(VALU_DEP_3)
	v_and_b32_e32 v80, 0xff, v78
	v_mul_lo_u16 v59, 0xab, v84
	s_delay_alu instid0(VALU_DEP_3) | instskip(NEXT) | instid1(VALU_DEP_3)
	v_lshrrev_b16 v63, 9, v55
	v_mul_lo_u16 v62, 0xab, v80
	s_delay_alu instid0(VALU_DEP_3) | instskip(NEXT) | instid1(VALU_DEP_3)
	v_lshrrev_b16 v59, 9, v59
	;; [unrolled: 3-line block ×3, first 2 shown]
	v_mul_lo_u16 v66, v59, 3
	s_delay_alu instid0(VALU_DEP_3) | instskip(NEXT) | instid1(VALU_DEP_3)
	v_sub_nc_u16 v65, v81, v65
	v_mul_lo_u16 v68, v62, 3
	s_delay_alu instid0(VALU_DEP_3) | instskip(NEXT) | instid1(VALU_DEP_3)
	v_sub_nc_u16 v66, v76, v66
	v_and_b32_e32 v65, 0xff, v65
	s_delay_alu instid0(VALU_DEP_3) | instskip(NEXT) | instid1(VALU_DEP_3)
	v_sub_nc_u16 v68, v78, v68
	v_and_b32_e32 v66, 0xff, v66
	s_delay_alu instid0(VALU_DEP_2) | instskip(NEXT) | instid1(VALU_DEP_4)
	v_and_b32_e32 v74, 0xff, v68
	v_lshlrev_b32_e32 v68, 4, v65
	s_delay_alu instid0(VALU_DEP_3)
	v_lshlrev_b32_e32 v75, 4, v66
	s_clause 0x1
	global_load_b128 v[68:71], v68, s[8:9]
	global_load_b128 v[89:92], v75, s[8:9]
	v_add_nc_u32_e32 v77, 0x7e, v81
	v_add_nc_u32_e32 v79, 0xfc, v81
	v_lshlrev_b32_e32 v97, 4, v74
	v_add_nc_u32_e32 v58, 0x13b, v81
	s_delay_alu instid0(VALU_DEP_4) | instskip(NEXT) | instid1(VALU_DEP_4)
	v_and_b32_e32 v83, 0xff, v77
	v_and_b32_e32 v55, 0xffff, v79
	s_delay_alu instid0(VALU_DEP_3) | instskip(NEXT) | instid1(VALU_DEP_3)
	v_and_b32_e32 v72, 0xffff, v58
	v_mul_lo_u16 v61, 0xab, v83
	s_delay_alu instid0(VALU_DEP_3) | instskip(NEXT) | instid1(VALU_DEP_3)
	v_mul_u32_u24_e32 v87, 0xaaab, v55
	v_mul_u32_u24_e32 v72, 0xaaab, v72
	s_delay_alu instid0(VALU_DEP_3) | instskip(NEXT) | instid1(VALU_DEP_3)
	v_lshrrev_b16 v61, 9, v61
	v_lshrrev_b32_e32 v75, 17, v87
	s_delay_alu instid0(VALU_DEP_3) | instskip(NEXT) | instid1(VALU_DEP_3)
	v_lshrrev_b32_e32 v72, 17, v72
	v_mul_lo_u16 v67, v61, 3
	s_delay_alu instid0(VALU_DEP_2) | instskip(SKIP_1) | instid1(VALU_DEP_3)
	v_mul_lo_u16 v101, v72, 3
	v_mul_u32_u24_e32 v72, 36, v72
	v_sub_nc_u16 v67, v77, v67
	s_delay_alu instid0(VALU_DEP_3) | instskip(NEXT) | instid1(VALU_DEP_2)
	v_sub_nc_u16 v58, v58, v101
	v_and_b32_e32 v67, 0xff, v67
	s_delay_alu instid0(VALU_DEP_2) | instskip(NEXT) | instid1(VALU_DEP_2)
	v_and_b32_e32 v121, 0xffff, v58
	v_lshlrev_b32_e32 v88, 4, v67
	s_clause 0x1
	global_load_b128 v[93:96], v88, s[8:9]
	global_load_b128 v[97:100], v97, s[8:9]
	v_add_nc_u32_e32 v64, 0x1b9, v81
	v_add_nc_u32_e32 v60, 0x17a, v81
	v_mul_lo_u16 v88, v75, 3
	s_delay_alu instid0(VALU_DEP_3) | instskip(NEXT) | instid1(VALU_DEP_3)
	v_and_b32_e32 v87, 0xffff, v64
	v_and_b32_e32 v73, 0xffff, v60
	s_delay_alu instid0(VALU_DEP_3) | instskip(NEXT) | instid1(VALU_DEP_3)
	v_sub_nc_u16 v88, v79, v88
	v_mul_u32_u24_e32 v87, 0xaaab, v87
	s_delay_alu instid0(VALU_DEP_3) | instskip(NEXT) | instid1(VALU_DEP_3)
	v_mul_u32_u24_e32 v73, 0xaaab, v73
	v_and_b32_e32 v88, 0xffff, v88
	s_delay_alu instid0(VALU_DEP_3) | instskip(NEXT) | instid1(VALU_DEP_3)
	v_lshrrev_b32_e32 v87, 17, v87
	v_lshrrev_b32_e32 v73, 17, v73
	s_delay_alu instid0(VALU_DEP_3) | instskip(NEXT) | instid1(VALU_DEP_3)
	v_lshlrev_b32_e32 v58, 4, v88
	v_mul_lo_u16 v103, v87, 3
	s_delay_alu instid0(VALU_DEP_3) | instskip(SKIP_1) | instid1(VALU_DEP_3)
	v_mul_lo_u16 v101, v73, 3
	v_mul_u32_u24_e32 v73, 36, v73
	v_sub_nc_u16 v64, v64, v103
	s_delay_alu instid0(VALU_DEP_3) | instskip(NEXT) | instid1(VALU_DEP_2)
	v_sub_nc_u16 v60, v60, v101
	v_and_b32_e32 v64, 0xffff, v64
	s_delay_alu instid0(VALU_DEP_1) | instskip(SKIP_3) | instid1(VALU_DEP_2)
	v_lshlrev_b32_e32 v113, 4, v64
	global_load_b128 v[113:116], v113, s[8:9]
	v_and_b32_e32 v102, 0xffff, v109
	v_lshlrev_b32_e32 v67, 2, v67
	v_mul_u32_u24_e32 v102, 0xaaab, v102
	s_delay_alu instid0(VALU_DEP_1)
	v_lshrrev_b32_e32 v122, 17, v102
	global_load_b128 v[101:104], v58, s[8:9]
	v_lshlrev_b32_e32 v105, 4, v121
	global_load_b128 v[105:108], v105, s[8:9]
	v_and_b32_e32 v123, 0xffff, v60
	v_mul_lo_u16 v58, v122, 3
	v_and_b32_e32 v59, 0xffff, v59
	v_and_b32_e32 v61, 0xffff, v61
	s_delay_alu instid0(VALU_DEP_4) | instskip(NEXT) | instid1(VALU_DEP_4)
	v_lshlrev_b32_e32 v60, 4, v123
	v_sub_nc_u16 v58, v109, v58
	s_delay_alu instid0(VALU_DEP_3) | instskip(SKIP_2) | instid1(VALU_DEP_1)
	v_mul_u32_u24_e32 v61, 36, v61
	global_load_b128 v[109:112], v60, s[8:9]
	v_and_b32_e32 v124, 0xffff, v58
	v_lshlrev_b32_e32 v58, 4, v124
	global_load_b128 v[117:120], v58, s[8:9]
	v_and_b32_e32 v58, 0xffff, v63
	v_lshlrev_b32_e32 v65, 2, v65
	v_mul_u32_u24_e32 v63, 36, v75
	v_mul_u32_u24_e32 v75, 36, v87
	;; [unrolled: 1-line block ×4, first 2 shown]
	v_mul_lo_u16 v58, v122, 9
	v_lshlrev_b32_e32 v122, 2, v123
	global_wb scope:SCOPE_SE
	s_wait_loadcnt_dscnt 0x0
	s_barrier_signal -1
	v_add3_u32 v60, 0, v60, v65
	v_lshlrev_b32_e32 v65, 2, v66
	s_barrier_wait -1
	global_inv scope:SCOPE_SE
	v_add3_u32 v66, 0, v87, v65
	v_add3_u32 v65, 0, v61, v67
	;; [unrolled: 1-line block ×3, first 2 shown]
	v_mul_f32_e32 v87, v50, v71
	v_mul_f32_e32 v73, v53, v90
	;; [unrolled: 1-line block ×3, first 2 shown]
	s_delay_alu instid0(VALU_DEP_3) | instskip(SKIP_1) | instid1(VALU_DEP_4)
	v_fmac_f32_e32 v87, v34, v70
	v_mul_f32_e32 v34, v37, v90
	v_dual_fmac_f32 v73, v37, v89 :: v_dual_mul_f32 v90, v35, v92
	v_lshlrev_b32_e32 v88, 2, v88
	s_delay_alu instid0(VALU_DEP_3) | instskip(NEXT) | instid1(VALU_DEP_3)
	v_fma_f32 v89, v53, v89, -v34
	v_fma_f32 v90, v51, v91, -v90
	s_delay_alu instid0(VALU_DEP_3) | instskip(SKIP_1) | instid1(VALU_DEP_1)
	v_add3_u32 v63, 0, v63, v88
	v_mul_f32_e32 v34, v41, v114
	v_dual_fmac_f32 v34, v25, v113 :: v_dual_mul_f32 v37, v47, v106
	v_mul_f32_e32 v53, v45, v108
	s_delay_alu instid0(VALU_DEP_2) | instskip(SKIP_1) | instid1(VALU_DEP_3)
	v_fmac_f32_e32 v37, v31, v105
	v_lshlrev_b32_e32 v123, 2, v64
	v_fmac_f32_e32 v53, v29, v107
	s_delay_alu instid0(VALU_DEP_2) | instskip(SKIP_2) | instid1(VALU_DEP_2)
	v_add3_u32 v67, 0, v75, v123
	v_mul_f32_e32 v75, v51, v92
	v_dual_mul_f32 v51, v38, v112 :: v_dual_and_b32 v62, 0xffff, v62
	v_dual_mul_f32 v92, v26, v94 :: v_dual_fmac_f32 v75, v35, v91
	s_delay_alu instid0(VALU_DEP_2) | instskip(NEXT) | instid1(VALU_DEP_3)
	v_fmac_f32_e32 v51, v18, v111
	v_mul_u32_u24_e32 v62, 36, v62
	v_dual_mul_f32 v35, v39, v116 :: v_dual_lshlrev_b32 v74, 2, v74
	s_delay_alu instid0(VALU_DEP_4) | instskip(NEXT) | instid1(VALU_DEP_2)
	v_fma_f32 v92, v42, v93, -v92
	v_fmac_f32_e32 v35, v19, v115
	s_delay_alu instid0(VALU_DEP_3) | instskip(SKIP_2) | instid1(VALU_DEP_2)
	v_add3_u32 v64, 0, v62, v74
	v_mul_f32_e32 v74, v52, v69
	v_mul_f32_e32 v69, v36, v69
	v_fmac_f32_e32 v74, v36, v68
	s_delay_alu instid0(VALU_DEP_2) | instskip(SKIP_3) | instid1(VALU_DEP_3)
	v_fma_f32 v88, v52, v68, -v69
	v_dual_mul_f32 v69, v42, v94 :: v_dual_mul_f32 v94, v32, v96
	v_dual_mul_f32 v52, v44, v104 :: v_dual_lshlrev_b32 v121, 2, v121
	v_mul_f32_e32 v68, v43, v98
	v_dual_mul_f32 v36, v40, v110 :: v_dual_fmac_f32 v69, v26, v93
	v_mul_f32_e32 v93, v19, v116
	s_delay_alu instid0(VALU_DEP_4)
	v_add3_u32 v62, 0, v72, v121
	v_fma_f32 v72, v50, v70, -v71
	v_dual_mul_f32 v71, v48, v96 :: v_dual_mul_f32 v96, v27, v98
	v_mul_f32_e32 v70, v49, v100
	v_mul_f32_e32 v98, v33, v100
	;; [unrolled: 1-line block ×10, first 2 shown]
	v_fma_f32 v48, v48, v95, -v94
	v_dual_fmac_f32 v71, v32, v95 :: v_dual_mul_f32 v26, v57, v118
	v_mul_f32_e32 v94, v86, v118
	v_mul_f32_e32 v32, v1, v120
	v_dual_fmac_f32 v68, v27, v97 :: v_dual_add_f32 v25, v73, v75
	v_mul_f32_e32 v95, v0, v120
	v_dual_fmac_f32 v70, v33, v99 :: v_dual_lshlrev_b32 v59, 2, v124
	v_fmac_f32_e32 v52, v28, v103
	v_fma_f32 v27, v41, v113, -v112
	v_dual_sub_f32 v41, v92, v48 :: v_dual_fmac_f32 v50, v30, v101
	v_fma_f32 v42, v47, v105, -v104
	v_fma_f32 v29, v45, v107, -v106
	v_add_f32_e32 v45, v68, v70
	v_fma_f32 v18, v39, v115, -v93
	v_fma_f32 v30, v57, v117, -v94
	v_dual_add_f32 v39, v2, v69 :: v_dual_fmac_f32 v32, v0, v119
	v_add_f32_e32 v93, v9, v37
	v_dual_fmac_f32 v36, v24, v109 :: v_dual_add_f32 v57, v50, v52
	v_fmac_f32_e32 v26, v86, v117
	v_fma_f32 v91, v43, v97, -v96
	v_fma_f32 v49, v49, v99, -v98
	s_delay_alu instid0(VALU_DEP_4)
	v_add_f32_e32 v97, v36, v51
	v_fma_f32 v33, v44, v103, -v102
	v_fma_f32 v31, v40, v109, -v108
	;; [unrolled: 1-line block ×3, first 2 shown]
	v_dual_add_f32 v40, v69, v71 :: v_dual_add_f32 v47, v8, v50
	v_dual_add_f32 v24, v74, v87 :: v_dual_add_f32 v99, v7, v34
	v_sub_f32_e32 v95, v42, v29
	v_add_f32_e32 v102, v26, v32
	v_fma_f32 v43, v46, v101, -v100
	v_fma_f32 v28, v38, v111, -v110
	v_add_f32_e32 v19, v4, v74
	v_sub_f32_e32 v1, v88, v72
	v_fma_f32 v4, -0.5, v24, v4
	v_dual_add_f32 v24, v5, v73 :: v_dual_sub_f32 v101, v27, v18
	v_dual_sub_f32 v38, v89, v90 :: v_dual_sub_f32 v103, v30, v0
	v_dual_add_f32 v94, v37, v53 :: v_dual_add_f32 v39, v39, v71
	v_dual_fmac_f32 v5, -0.5, v25 :: v_dual_add_f32 v100, v34, v35
	v_fma_f32 v2, -0.5, v40, v2
	v_fma_f32 v8, -0.5, v57, v8
	v_add_f32_e32 v57, v99, v35
	v_fma_f32 v25, -0.5, v102, v85
	v_add_f32_e32 v19, v19, v87
	v_add_f32_e32 v44, v3, v68
	v_dual_sub_f32 v46, v91, v49 :: v_dual_fmac_f32 v9, -0.5, v94
	v_dual_add_f32 v96, v6, v36 :: v_dual_fmac_f32 v3, -0.5, v45
	v_sub_f32_e32 v86, v43, v33
	v_dual_sub_f32 v98, v31, v28 :: v_dual_add_f32 v45, v93, v53
	v_fma_f32 v6, -0.5, v97, v6
	v_fmamk_f32 v93, v38, 0xbf5db3d7, v5
	v_fmac_f32_e32 v5, 0x3f5db3d7, v38
	v_fmamk_f32 v38, v41, 0xbf5db3d7, v2
	v_dual_fmamk_f32 v104, v1, 0xbf5db3d7, v4 :: v_dual_fmac_f32 v7, -0.5, v100
	v_dual_fmac_f32 v4, 0x3f5db3d7, v1 :: v_dual_add_f32 v1, v24, v75
	v_fmac_f32_e32 v2, 0x3f5db3d7, v41
	v_fmamk_f32 v24, v103, 0xbf5db3d7, v25
	v_dual_fmac_f32 v25, 0x3f5db3d7, v103 :: v_dual_add_f32 v40, v44, v70
	v_dual_fmamk_f32 v41, v46, 0xbf5db3d7, v3 :: v_dual_add_f32 v44, v47, v52
	v_add_f32_e32 v47, v96, v51
	v_fmac_f32_e32 v3, 0x3f5db3d7, v46
	v_fmamk_f32 v46, v86, 0xbf5db3d7, v8
	v_fmac_f32_e32 v8, 0x3f5db3d7, v86
	v_fmamk_f32 v86, v95, 0xbf5db3d7, v9
	;; [unrolled: 2-line block ×4, first 2 shown]
	v_fmac_f32_e32 v7, 0x3f5db3d7, v101
	ds_store_2addr_b32 v60, v19, v104 offset1:3
	ds_store_b32 v60, v4 offset:24
	ds_store_2addr_b32 v66, v1, v93 offset1:3
	ds_store_b32 v66, v5 offset:24
	;; [unrolled: 2-line block ×8, first 2 shown]
	s_and_saveexec_b32 s1, s0
	s_cbranch_execz .LBB0_25
; %bb.24:
	v_add_f32_e32 v2, v85, v26
	s_delay_alu instid0(VALU_DEP_1) | instskip(NEXT) | instid1(VALU_DEP_1)
	v_dual_add_f32 v2, v2, v32 :: v_dual_and_b32 v1, 0xffff, v58
	v_lshlrev_b32_e32 v1, 2, v1
	s_delay_alu instid0(VALU_DEP_1)
	v_add3_u32 v1, 0, v59, v1
	ds_store_2addr_b32 v1, v2, v24 offset1:3
	ds_store_b32 v1, v25 offset:24
.LBB0_25:
	s_wait_alu 0xfffe
	s_or_b32 exec_lo, exec_lo, s1
	v_dual_add_f32 v1, v88, v72 :: v_dual_add_f32 v4, v89, v90
	v_dual_add_f32 v2, v12, v88 :: v_dual_sub_f32 v3, v74, v87
	v_sub_f32_e32 v5, v73, v75
	s_delay_alu instid0(VALU_DEP_3) | instskip(NEXT) | instid1(VALU_DEP_3)
	v_fma_f32 v57, -0.5, v1, v12
	v_dual_add_f32 v1, v13, v89 :: v_dual_add_f32 v72, v2, v72
	v_fmac_f32_e32 v13, -0.5, v4
	v_dual_add_f32 v2, v10, v92 :: v_dual_add_nc_u32 v7, 0x1200, v82
	s_delay_alu instid0(VALU_DEP_3) | instskip(NEXT) | instid1(VALU_DEP_3)
	v_dual_add_f32 v74, v1, v90 :: v_dual_add_f32 v1, v92, v48
	v_fmamk_f32 v75, v5, 0x3f5db3d7, v13
	v_dual_fmac_f32 v13, 0xbf5db3d7, v5 :: v_dual_add_f32 v4, v31, v28
	v_add_nc_u32_e32 v47, 0x1000, v82
	s_delay_alu instid0(VALU_DEP_4)
	v_fma_f32 v85, -0.5, v1, v10
	v_sub_f32_e32 v1, v69, v71
	v_dual_add_f32 v69, v2, v48 :: v_dual_add_f32 v2, v11, v91
	v_fmamk_f32 v73, v3, 0x3f5db3d7, v57
	v_fmac_f32_e32 v57, 0xbf5db3d7, v3
	v_dual_add_f32 v3, v91, v49 :: v_dual_add_nc_u32 v10, 0x800, v82
	global_wb scope:SCOPE_SE
	s_wait_dscnt 0x0
	s_barrier_signal -1
	s_barrier_wait -1
	v_fmac_f32_e32 v11, -0.5, v3
	v_dual_sub_f32 v3, v68, v70 :: v_dual_fmamk_f32 v68, v1, 0x3f5db3d7, v85
	v_fmac_f32_e32 v85, 0xbf5db3d7, v1
	v_add_f32_e32 v1, v43, v33
	v_add_f32_e32 v70, v2, v49
	;; [unrolled: 1-line block ×3, first 2 shown]
	v_add_nc_u32_e32 v6, 0xe00, v82
	v_add_nc_u32_e32 v12, 0xc00, v82
	v_fma_f32 v86, -0.5, v1, v16
	v_sub_f32_e32 v1, v50, v52
	v_add_f32_e32 v50, v2, v33
	v_add_f32_e32 v2, v17, v42
	v_add_nc_u32_e32 v46, 0x1400, v82
	v_add_nc_u32_e32 v16, 0xa00, v82
	v_fmamk_f32 v52, v1, 0x3f5db3d7, v86
	v_fmac_f32_e32 v86, 0xbf5db3d7, v1
	v_fmamk_f32 v71, v3, 0x3f5db3d7, v11
	v_fmac_f32_e32 v11, 0xbf5db3d7, v3
	v_add_f32_e32 v3, v42, v29
	v_add_f32_e32 v1, v14, v31
	v_fma_f32 v31, -0.5, v4, v14
	v_add_f32_e32 v4, v15, v27
	s_delay_alu instid0(VALU_DEP_4) | instskip(SKIP_4) | instid1(VALU_DEP_4)
	v_dual_fmac_f32 v17, -0.5, v3 :: v_dual_add_nc_u32 v14, 0x400, v82
	v_sub_f32_e32 v3, v37, v53
	v_dual_add_f32 v53, v2, v29 :: v_dual_sub_f32 v2, v36, v51
	v_add_f32_e32 v51, v1, v28
	v_add_f32_e32 v1, v30, v0
	v_fmamk_f32 v87, v3, 0x3f5db3d7, v17
	v_fmac_f32_e32 v17, 0xbf5db3d7, v3
	v_add_f32_e32 v3, v27, v18
	v_add_nc_u32_e32 v48, 0x600, v82
	v_fma_f32 v27, -0.5, v1, v54
	v_sub_f32_e32 v1, v26, v32
	v_fmamk_f32 v88, v2, 0x3f5db3d7, v31
	v_fmac_f32_e32 v15, -0.5, v3
	v_sub_f32_e32 v3, v34, v35
	v_fmac_f32_e32 v31, 0xbf5db3d7, v2
	v_fmamk_f32 v26, v1, 0x3f5db3d7, v27
	v_fmac_f32_e32 v27, 0xbf5db3d7, v1
	v_add_nc_u32_e32 v1, 0x200, v82
	v_dual_add_f32 v89, v4, v18 :: v_dual_fmamk_f32 v90, v3, 0x3f5db3d7, v15
	v_fmac_f32_e32 v15, 0xbf5db3d7, v3
	global_inv scope:SCOPE_SE
	ds_load_2addr_b32 v[2:3], v82 offset1:63
	ds_load_2addr_b32 v[28:29], v1 offset0:124 offset1:187
	ds_load_2addr_b32 v[44:45], v10 offset0:118 offset1:181
	;; [unrolled: 1-line block ×11, first 2 shown]
	ds_load_b32 v49, v82 offset:6048
	global_wb scope:SCOPE_SE
	s_wait_dscnt 0x0
	s_barrier_signal -1
	s_barrier_wait -1
	global_inv scope:SCOPE_SE
	ds_store_2addr_b32 v60, v72, v73 offset1:3
	ds_store_b32 v60, v57 offset:24
	ds_store_2addr_b32 v66, v74, v75 offset1:3
	ds_store_b32 v66, v13 offset:24
	;; [unrolled: 2-line block ×8, first 2 shown]
	s_and_saveexec_b32 s1, s0
	s_cbranch_execz .LBB0_27
; %bb.26:
	v_add_f32_e32 v13, v54, v30
	s_delay_alu instid0(VALU_DEP_1) | instskip(NEXT) | instid1(VALU_DEP_1)
	v_dual_add_f32 v0, v13, v0 :: v_dual_and_b32 v11, 0xffff, v58
	v_lshlrev_b32_e32 v11, 2, v11
	s_delay_alu instid0(VALU_DEP_1)
	v_add3_u32 v11, 0, v59, v11
	ds_store_2addr_b32 v11, v0, v26 offset1:3
	ds_store_b32 v11, v27 offset:24
.LBB0_27:
	s_wait_alu 0xfffe
	s_or_b32 exec_lo, exec_lo, s1
	v_mul_lo_u16 v0, v56, 57
	global_wb scope:SCOPE_SE
	s_wait_dscnt 0x0
	s_barrier_signal -1
	s_barrier_wait -1
	global_inv scope:SCOPE_SE
	v_lshrrev_b16 v11, 9, v0
	v_mul_lo_u16 v0, v84, 57
	v_cmp_gt_u32_e64 s0, 36, v81
	s_delay_alu instid0(VALU_DEP_3) | instskip(NEXT) | instid1(VALU_DEP_3)
	v_mul_lo_u16 v13, v11, 9
	v_lshrrev_b16 v15, 9, v0
	s_delay_alu instid0(VALU_DEP_2) | instskip(SKIP_1) | instid1(VALU_DEP_3)
	v_sub_nc_u16 v0, v81, v13
	v_mul_lo_u16 v13, v83, 57
	v_mul_lo_u16 v17, v15, 9
	s_delay_alu instid0(VALU_DEP_3) | instskip(NEXT) | instid1(VALU_DEP_3)
	v_and_b32_e32 v52, 0xff, v0
	v_lshrrev_b16 v13, 9, v13
	v_mul_lo_u16 v0, v80, 57
	s_delay_alu instid0(VALU_DEP_4) | instskip(NEXT) | instid1(VALU_DEP_4)
	v_sub_nc_u16 v17, v76, v17
	v_lshlrev_b32_e32 v30, 5, v52
	s_delay_alu instid0(VALU_DEP_4) | instskip(NEXT) | instid1(VALU_DEP_4)
	v_mul_lo_u16 v31, v13, 9
	v_lshrrev_b16 v53, 9, v0
	s_clause 0x1
	global_load_b128 v[56:59], v30, s[8:9] offset:48
	global_load_b128 v[86:89], v30, s[8:9] offset:64
	v_and_b32_e32 v17, 0xff, v17
	v_sub_nc_u16 v0, v77, v31
	v_mul_lo_u16 v31, v53, 9
	v_mul_u32_u24_e32 v30, 0xe38f, v55
	s_delay_alu instid0(VALU_DEP_4) | instskip(NEXT) | instid1(VALU_DEP_4)
	v_lshlrev_b32_e32 v50, 5, v17
	v_and_b32_e32 v60, 0xff, v0
	s_delay_alu instid0(VALU_DEP_4) | instskip(NEXT) | instid1(VALU_DEP_4)
	v_sub_nc_u16 v0, v78, v31
	v_lshrrev_b32_e32 v61, 19, v30
	s_clause 0x1
	global_load_b128 v[103:106], v50, s[8:9] offset:48
	global_load_b128 v[107:110], v50, s[8:9] offset:64
	v_and_b32_e32 v62, 0xff, v0
	v_mul_lo_u16 v0, v61, 9
	v_lshlrev_b32_e32 v30, 5, v60
	v_and_b32_e32 v15, 0xffff, v15
	v_and_b32_e32 v13, 0xffff, v13
	v_lshlrev_b32_e32 v31, 5, v62
	v_sub_nc_u16 v0, v79, v0
	s_clause 0x1
	global_load_b128 v[111:114], v30, s[8:9] offset:48
	global_load_b128 v[115:118], v30, s[8:9] offset:64
	v_mul_u32_u24_e32 v61, 0xb4, v61
	s_clause 0x1
	global_load_b128 v[119:122], v31, s[8:9] offset:48
	global_load_b128 v[123:126], v31, s[8:9] offset:64
	v_and_b32_e32 v63, 0xffff, v0
	s_delay_alu instid0(VALU_DEP_1)
	v_lshlrev_b32_e32 v0, 5, v63
	s_clause 0x1
	global_load_b128 v[127:130], v0, s[8:9] offset:48
	global_load_b128 v[131:134], v0, s[8:9] offset:64
	ds_load_2addr_b32 v[30:31], v1 offset0:124 offset1:187
	ds_load_2addr_b32 v[50:51], v10 offset0:118 offset1:181
	;; [unrolled: 1-line block ×4, first 2 shown]
	ds_load_2addr_b32 v[0:1], v82 offset1:63
	ds_load_2addr_b32 v[135:136], v14 offset0:122 offset1:185
	ds_load_2addr_b32 v[137:138], v6 offset0:112 offset1:175
	ds_load_2addr_b32 v[6:7], v82 offset0:126 offset1:189
	ds_load_2addr_b32 v[139:140], v16 offset0:116 offset1:179
	ds_load_2addr_b32 v[141:142], v46 offset0:106 offset1:169
	ds_load_2addr_b32 v[143:144], v48 offset0:120 offset1:183
	ds_load_2addr_b32 v[145:146], v47 offset0:110 offset1:173
	ds_load_b32 v85, v82 offset:6048
	v_and_b32_e32 v11, 0xffff, v11
	v_and_b32_e32 v53, 0xffff, v53
	v_lshlrev_b32_e32 v52, 2, v52
	global_wb scope:SCOPE_SE
	s_wait_loadcnt_dscnt 0x0
	s_barrier_signal -1
	s_barrier_wait -1
	global_inv scope:SCOPE_SE
	v_dual_mul_f32 v92, v31, v57 :: v_dual_lshlrev_b32 v63, 2, v63
	v_dual_mul_f32 v94, v55, v87 :: v_dual_lshlrev_b32 v17, 2, v17
	;; [unrolled: 1-line block ×3, first 2 shown]
	v_mul_f32_e32 v98, v73, v89
	s_delay_alu instid0(VALU_DEP_3) | instskip(NEXT) | instid1(VALU_DEP_3)
	v_fmac_f32_e32 v94, v9, v86
	v_fmac_f32_e32 v93, v44, v58
	v_mul_f32_e32 v66, v45, v106
	v_mul_u32_u24_e32 v15, 0xb4, v15
	v_mul_f32_e32 v72, v51, v106
	v_mul_u32_u24_e32 v11, 0xb4, v11
	;; [unrolled: 2-line block ×4, first 2 shown]
	v_mul_f32_e32 v75, v38, v104
	v_mul_f32_e32 v70, v136, v112
	v_add3_u32 v17, 0, v15, v17
	v_add3_u32 v15, 0, v61, v63
	v_mul_f32_e32 v61, v42, v89
	v_mul_f32_e32 v89, v74, v110
	v_dual_mul_f32 v97, v34, v108 :: v_dual_lshlrev_b32 v62, 2, v62
	v_mul_f32_e32 v68, v139, v114
	v_dual_mul_f32 v106, v40, v114 :: v_dual_mul_f32 v69, v138, v116
	v_mul_f32_e32 v71, v141, v118
	v_add3_u32 v52, 0, v11, v52
	v_add3_u32 v11, 0, v13, v60
	;; [unrolled: 1-line block ×3, first 2 shown]
	v_mul_f32_e32 v53, v29, v57
	v_mul_f32_e32 v57, v44, v59
	;; [unrolled: 1-line block ×3, first 2 shown]
	v_dual_mul_f32 v87, v135, v104 :: v_dual_mul_f32 v110, v36, v118
	v_dual_mul_f32 v63, v143, v120 :: v_dual_mul_f32 v64, v140, v122
	v_mul_f32_e32 v65, v145, v124
	v_mul_f32_e32 v104, v39, v112
	v_dual_mul_f32 v108, v35, v116 :: v_dual_mul_f32 v67, v142, v126
	v_dual_mul_f32 v112, v32, v120 :: v_dual_mul_f32 v9, v54, v130
	v_mul_f32_e32 v114, v41, v122
	v_dual_fmac_f32 v92, v29, v56 :: v_dual_fmac_f32 v87, v38, v103
	v_fma_f32 v100, v31, v56, -v53
	v_fma_f32 v101, v50, v58, -v57
	v_dual_mul_f32 v29, v18, v124 :: v_dual_mul_f32 v44, v37, v126
	v_mul_f32_e32 v53, v146, v132
	v_mul_f32_e32 v60, v144, v128
	v_dual_fmac_f32 v98, v42, v88 :: v_dual_fmac_f32 v89, v43, v109
	v_dual_mul_f32 v42, v33, v128 :: v_dual_fmac_f32 v69, v35, v115
	v_dual_mul_f32 v50, v8, v130 :: v_dual_fmac_f32 v65, v18, v123
	v_dual_fmac_f32 v72, v45, v105 :: v_dual_fmac_f32 v63, v32, v119
	v_dual_mul_f32 v62, v85, v134 :: v_dual_fmac_f32 v71, v36, v117
	v_fma_f32 v91, v51, v105, -v66
	v_dual_mul_f32 v51, v49, v134 :: v_dual_fmac_f32 v90, v34, v107
	v_dual_fmac_f32 v67, v37, v125 :: v_dual_fmac_f32 v70, v39, v111
	v_fmac_f32_e32 v9, v8, v129
	v_dual_fmac_f32 v68, v40, v113 :: v_dual_fmac_f32 v53, v19, v131
	v_fma_f32 v95, v135, v103, -v75
	v_fma_f32 v96, v74, v109, -v96
	v_fmac_f32_e32 v64, v41, v121
	v_fma_f32 v102, v55, v86, -v59
	v_fma_f32 v99, v73, v88, -v61
	v_mul_f32_e32 v45, v19, v132
	v_fma_f32 v97, v137, v107, -v97
	v_fma_f32 v35, v145, v123, -v29
	v_dual_add_f32 v29, v2, v92 :: v_dual_fmac_f32 v60, v33, v127
	v_sub_f32_e32 v33, v92, v93
	v_fma_f32 v61, v54, v129, -v50
	v_dual_fmac_f32 v62, v49, v133 :: v_dual_add_f32 v39, v92, v98
	v_fma_f32 v8, v85, v133, -v51
	v_add_f32_e32 v32, v93, v94
	v_dual_sub_f32 v38, v98, v94 :: v_dual_sub_f32 v49, v87, v72
	v_dual_sub_f32 v40, v93, v92 :: v_dual_sub_f32 v41, v94, v98
	v_dual_sub_f32 v50, v89, v90 :: v_dual_add_f32 v51, v87, v89
	v_dual_sub_f32 v54, v72, v87 :: v_dual_sub_f32 v85, v70, v68
	v_dual_sub_f32 v86, v71, v69 :: v_dual_add_f32 v103, v70, v71
	v_fma_f32 v18, v144, v127, -v42
	v_dual_add_f32 v42, v3, v87 :: v_dual_add_f32 v43, v72, v90
	v_fma_f32 v73, v136, v111, -v104
	v_fma_f32 v74, v139, v113, -v106
	;; [unrolled: 1-line block ×6, first 2 shown]
	v_dual_sub_f32 v44, v95, v96 :: v_dual_sub_f32 v55, v90, v89
	s_delay_alu instid0(VALU_DEP_4)
	v_dual_add_f32 v57, v68, v69 :: v_dual_sub_f32 v58, v73, v88
	v_dual_add_f32 v106, v5, v63 :: v_dual_add_f32 v107, v64, v65
	v_fma_f32 v34, v140, v121, -v114
	v_fma_f32 v19, v146, v131, -v45
	v_dual_sub_f32 v36, v100, v99 :: v_dual_sub_f32 v37, v101, v102
	v_dual_sub_f32 v45, v91, v97 :: v_dual_add_f32 v56, v4, v70
	v_dual_sub_f32 v59, v74, v75 :: v_dual_sub_f32 v104, v68, v70
	v_dual_sub_f32 v105, v69, v71 :: v_dual_sub_f32 v110, v63, v64
	v_sub_f32_e32 v113, v64, v63
	v_dual_sub_f32 v111, v67, v65 :: v_dual_sub_f32 v114, v65, v67
	v_dual_add_f32 v112, v63, v67 :: v_dual_add_f32 v115, v28, v60
	v_dual_add_f32 v116, v9, v53 :: v_dual_sub_f32 v117, v18, v8
	v_dual_sub_f32 v120, v62, v53 :: v_dual_add_f32 v121, v60, v62
	v_dual_sub_f32 v123, v53, v62 :: v_dual_add_f32 v40, v40, v41
	v_add_f32_e32 v38, v33, v38
	v_add_f32_e32 v41, v49, v50
	;; [unrolled: 1-line block ×4, first 2 shown]
	v_fma_f32 v85, -0.5, v32, v2
	v_add_f32_e32 v32, v42, v72
	v_fma_f32 v2, -0.5, v39, v2
	v_fma_f32 v43, -0.5, v43, v3
	v_dual_sub_f32 v108, v31, v66 :: v_dual_sub_f32 v109, v34, v35
	v_dual_sub_f32 v122, v9, v60 :: v_dual_fmac_f32 v3, -0.5, v51
	v_add_f32_e32 v49, v54, v55
	v_fma_f32 v55, -0.5, v107, v5
	v_fma_f32 v42, -0.5, v57, v4
	;; [unrolled: 1-line block ×3, first 2 shown]
	v_dual_sub_f32 v118, v61, v19 :: v_dual_sub_f32 v119, v60, v9
	v_add_f32_e32 v51, v104, v105
	v_dual_fmac_f32 v5, -0.5, v112 :: v_dual_add_f32 v86, v115, v9
	v_add_f32_e32 v39, v56, v68
	v_dual_add_f32 v56, v106, v64 :: v_dual_add_f32 v57, v113, v114
	v_fma_f32 v29, -0.5, v116, v28
	v_dual_fmac_f32 v28, -0.5, v121 :: v_dual_add_f32 v105, v33, v94
	v_fmamk_f32 v106, v36, 0xbf737871, v85
	v_fmac_f32_e32 v85, 0x3f737871, v36
	v_dual_fmamk_f32 v107, v37, 0x3f737871, v2 :: v_dual_add_f32 v56, v56, v65
	v_fmac_f32_e32 v2, 0xbf737871, v37
	v_dual_add_f32 v54, v110, v111 :: v_dual_fmamk_f32 v111, v44, 0xbf737871, v43
	v_fmac_f32_e32 v43, 0x3f737871, v44
	v_dual_fmamk_f32 v112, v45, 0x3f737871, v3 :: v_dual_add_f32 v39, v39, v69
	v_fmac_f32_e32 v3, 0xbf737871, v45
	v_fmamk_f32 v113, v58, 0xbf737871, v42
	v_fmac_f32_e32 v42, 0x3f737871, v58
	v_fmamk_f32 v114, v59, 0x3f737871, v4
	v_dual_fmamk_f32 v115, v108, 0xbf737871, v55 :: v_dual_add_f32 v86, v86, v53
	v_dual_fmac_f32 v55, 0x3f737871, v108 :: v_dual_add_f32 v110, v32, v90
	v_fmac_f32_e32 v4, 0xbf737871, v59
	v_dual_fmamk_f32 v116, v109, 0x3f737871, v5 :: v_dual_fmamk_f32 v33, v118, 0x3f737871, v28
	v_dual_fmac_f32 v5, 0xbf737871, v109 :: v_dual_fmac_f32 v28, 0xbf737871, v118
	v_fmamk_f32 v32, v117, 0xbf737871, v29
	v_fmac_f32_e32 v29, 0x3f737871, v117
	v_dual_fmac_f32 v106, 0xbf167918, v37 :: v_dual_fmac_f32 v107, 0xbf167918, v36
	v_dual_fmac_f32 v85, 0x3f167918, v37 :: v_dual_fmac_f32 v2, 0x3f167918, v36
	;; [unrolled: 1-line block ×5, first 2 shown]
	v_fmac_f32_e32 v55, 0x3f167918, v109
	v_dual_add_f32 v103, v119, v120 :: v_dual_add_f32 v104, v122, v123
	v_dual_fmac_f32 v113, 0xbf167918, v59 :: v_dual_fmac_f32 v114, 0xbf167918, v58
	v_dual_add_f32 v36, v105, v98 :: v_dual_add_f32 v39, v39, v71
	v_dual_fmac_f32 v116, 0xbf167918, v108 :: v_dual_fmac_f32 v115, 0xbf167918, v109
	v_fmac_f32_e32 v32, 0xbf167918, v118
	v_dual_fmac_f32 v5, 0x3f167918, v108 :: v_dual_fmac_f32 v28, 0x3f167918, v117
	v_fmac_f32_e32 v29, 0x3f167918, v118
	v_fmac_f32_e32 v33, 0xbf167918, v117
	v_dual_fmac_f32 v106, 0x3e9e377a, v38 :: v_dual_fmac_f32 v107, 0x3e9e377a, v40
	v_dual_add_f32 v45, v86, v62 :: v_dual_fmac_f32 v2, 0x3e9e377a, v40
	v_dual_fmac_f32 v85, 0x3e9e377a, v38 :: v_dual_fmac_f32 v112, 0x3e9e377a, v49
	v_dual_add_f32 v37, v110, v89 :: v_dual_add_f32 v44, v56, v67
	v_dual_fmac_f32 v111, 0x3e9e377a, v41 :: v_dual_fmac_f32 v42, 0x3e9e377a, v50
	v_dual_fmac_f32 v43, 0x3e9e377a, v41 :: v_dual_fmac_f32 v114, 0x3e9e377a, v51
	;; [unrolled: 1-line block ×6, first 2 shown]
	v_fmac_f32_e32 v5, 0x3e9e377a, v57
	v_fmac_f32_e32 v29, 0x3e9e377a, v103
	;; [unrolled: 1-line block ×3, first 2 shown]
	ds_store_2addr_b32 v52, v36, v106 offset1:9
	ds_store_2addr_b32 v52, v107, v2 offset0:18 offset1:27
	ds_store_b32 v52, v85 offset:144
	ds_store_2addr_b32 v17, v37, v111 offset1:9
	ds_store_2addr_b32 v17, v112, v3 offset0:18 offset1:27
	ds_store_b32 v17, v43 offset:144
	;; [unrolled: 3-line block ×5, first 2 shown]
	global_wb scope:SCOPE_SE
	s_wait_dscnt 0x0
	s_barrier_signal -1
	s_barrier_wait -1
	global_inv scope:SCOPE_SE
	ds_load_2addr_b32 v[38:39], v82 offset1:63
	ds_load_2addr_b32 v[36:37], v82 offset0:126 offset1:225
	ds_load_2addr_b32 v[58:59], v48 offset0:66 offset1:129
	;; [unrolled: 1-line block ×9, first 2 shown]
	ds_load_b32 v85, v82 offset:5904
                                        ; implicit-def: $vgpr86
	s_and_saveexec_b32 s1, s0
	s_cbranch_execz .LBB0_29
; %bb.28:
	v_add_nc_u32_e32 v2, 0x280, v82
	v_add_nc_u32_e32 v3, 0x9c0, v82
	;; [unrolled: 1-line block ×3, first 2 shown]
	ds_load_2addr_b32 v[32:33], v2 offset0:29 offset1:254
	ds_load_2addr_b32 v[28:29], v3 offset0:15 offset1:240
	;; [unrolled: 1-line block ×3, first 2 shown]
	ds_load_b32 v86, v82 offset:6156
.LBB0_29:
	s_wait_alu 0xfffe
	s_or_b32 exec_lo, exec_lo, s1
	v_dual_add_f32 v2, v101, v102 :: v_dual_add_f32 v3, v0, v100
	v_sub_f32_e32 v4, v92, v98
	v_dual_sub_f32 v12, v99, v102 :: v_dual_sub_f32 v47, v102, v99
	s_delay_alu instid0(VALU_DEP_3) | instskip(NEXT) | instid1(VALU_DEP_4)
	v_fma_f32 v2, -0.5, v2, v0
	v_dual_add_f32 v3, v3, v101 :: v_dual_add_f32 v14, v100, v99
	v_dual_sub_f32 v5, v93, v94 :: v_dual_sub_f32 v10, v100, v101
	s_delay_alu instid0(VALU_DEP_2) | instskip(SKIP_1) | instid1(VALU_DEP_4)
	v_dual_fmamk_f32 v46, v4, 0x3f737871, v2 :: v_dual_add_f32 v3, v3, v102
	v_sub_f32_e32 v16, v101, v100
	v_fma_f32 v0, -0.5, v14, v0
	v_fmac_f32_e32 v2, 0xbf737871, v4
	v_dual_add_f32 v10, v10, v12 :: v_dual_sub_f32 v87, v87, v89
	v_add_f32_e32 v3, v3, v99
	v_add_f32_e32 v16, v16, v47
	v_dual_add_f32 v47, v1, v95 :: v_dual_fmac_f32 v46, 0x3f167918, v5
	v_dual_fmamk_f32 v12, v5, 0xbf737871, v0 :: v_dual_sub_f32 v89, v96, v97
	v_fmac_f32_e32 v2, 0xbf167918, v5
	s_delay_alu instid0(VALU_DEP_3)
	v_dual_fmac_f32 v0, 0x3f737871, v5 :: v_dual_add_f32 v5, v47, v91
	v_dual_sub_f32 v47, v72, v90 :: v_dual_sub_f32 v72, v95, v91
	v_add_f32_e32 v90, v95, v96
	v_add_f32_e32 v14, v91, v97
	v_fmac_f32_e32 v12, 0x3f167918, v4
	v_fmac_f32_e32 v0, 0xbf167918, v4
	v_add_f32_e32 v4, v5, v97
	v_sub_f32_e32 v70, v70, v71
	v_fma_f32 v14, -0.5, v14, v1
	v_fmac_f32_e32 v1, -0.5, v90
	v_dual_add_f32 v71, v73, v88 :: v_dual_fmac_f32 v46, 0x3e9e377a, v10
	v_add_f32_e32 v5, v72, v89
	v_dual_sub_f32 v89, v97, v96 :: v_dual_sub_f32 v68, v68, v69
	v_sub_f32_e32 v72, v91, v95
	v_dual_add_f32 v91, v74, v75 :: v_dual_fmac_f32 v2, 0x3e9e377a, v10
	v_dual_fmac_f32 v12, 0x3e9e377a, v16 :: v_dual_sub_f32 v69, v73, v74
	v_fmac_f32_e32 v0, 0x3e9e377a, v16
	v_add_f32_e32 v90, v6, v73
	v_add_f32_e32 v72, v72, v89
	v_fma_f32 v89, -0.5, v91, v6
	v_fmamk_f32 v10, v87, 0x3f737871, v14
	v_fma_f32 v6, -0.5, v71, v6
	v_fmamk_f32 v16, v47, 0xbf737871, v1
	v_fmac_f32_e32 v1, 0x3f737871, v47
	v_fmac_f32_e32 v14, 0xbf737871, v87
	v_fmac_f32_e32 v10, 0x3f167918, v47
	v_fmamk_f32 v71, v68, 0xbf737871, v6
	v_fmac_f32_e32 v16, 0x3f167918, v87
	v_fmac_f32_e32 v1, 0xbf167918, v87
	s_delay_alu instid0(VALU_DEP_4) | instskip(SKIP_2) | instid1(VALU_DEP_3)
	v_dual_sub_f32 v87, v88, v75 :: v_dual_fmac_f32 v10, 0x3e9e377a, v5
	v_sub_f32_e32 v63, v63, v67
	v_dual_fmac_f32 v71, 0x3f167918, v70 :: v_dual_sub_f32 v64, v64, v65
	v_add_f32_e32 v69, v69, v87
	v_dual_sub_f32 v65, v31, v34 :: v_dual_fmac_f32 v16, 0x3e9e377a, v72
	v_dual_fmac_f32 v1, 0x3e9e377a, v72 :: v_dual_sub_f32 v72, v74, v73
	v_dual_sub_f32 v73, v75, v88 :: v_dual_fmac_f32 v14, 0xbf167918, v47
	v_add_f32_e32 v47, v90, v74
	global_wb scope:SCOPE_SE
	s_wait_dscnt 0x0
	s_barrier_signal -1
	v_add_f32_e32 v72, v72, v73
	v_dual_fmac_f32 v14, 0x3e9e377a, v5 :: v_dual_add_f32 v5, v47, v75
	v_fmamk_f32 v47, v70, 0x3f737871, v89
	s_barrier_wait -1
	global_inv scope:SCOPE_SE
	v_sub_f32_e32 v9, v9, v53
	v_add_f32_e32 v5, v5, v88
	v_fmac_f32_e32 v47, 0x3f167918, v68
	s_delay_alu instid0(VALU_DEP_1) | instskip(SKIP_1) | instid1(VALU_DEP_1)
	v_dual_fmac_f32 v47, 0x3e9e377a, v69 :: v_dual_add_f32 v4, v4, v96
	v_fmac_f32_e32 v89, 0xbf737871, v70
	v_fmac_f32_e32 v89, 0xbf167918, v68
	s_delay_alu instid0(VALU_DEP_1) | instskip(SKIP_2) | instid1(VALU_DEP_2)
	v_fmac_f32_e32 v89, 0x3e9e377a, v69
	v_dual_sub_f32 v69, v66, v35 :: v_dual_fmac_f32 v6, 0x3f737871, v68
	v_add_f32_e32 v68, v7, v31
	v_dual_add_f32 v74, v34, v35 :: v_dual_add_f32 v65, v65, v69
	s_delay_alu instid0(VALU_DEP_3) | instskip(NEXT) | instid1(VALU_DEP_3)
	v_dual_fmac_f32 v6, 0xbf167918, v70 :: v_dual_add_f32 v69, v61, v19
	v_add_f32_e32 v67, v68, v34
	s_delay_alu instid0(VALU_DEP_3) | instskip(NEXT) | instid1(VALU_DEP_2)
	v_fma_f32 v73, -0.5, v74, v7
	v_dual_add_f32 v67, v67, v35 :: v_dual_fmac_f32 v6, 0x3e9e377a, v72
	v_sub_f32_e32 v35, v35, v66
	v_fmac_f32_e32 v71, 0x3e9e377a, v72
	s_delay_alu instid0(VALU_DEP_3) | instskip(SKIP_2) | instid1(VALU_DEP_2)
	v_dual_add_f32 v67, v67, v66 :: v_dual_sub_f32 v34, v34, v31
	v_fmamk_f32 v68, v63, 0x3f737871, v73
	v_fmac_f32_e32 v73, 0xbf737871, v63
	v_dual_add_f32 v35, v34, v35 :: v_dual_fmac_f32 v68, 0x3f167918, v64
	s_delay_alu instid0(VALU_DEP_2) | instskip(SKIP_1) | instid1(VALU_DEP_3)
	v_dual_fmac_f32 v73, 0xbf167918, v64 :: v_dual_add_f32 v70, v31, v66
	v_fma_f32 v31, -0.5, v69, v30
	v_fmac_f32_e32 v68, 0x3e9e377a, v65
	s_delay_alu instid0(VALU_DEP_3) | instskip(NEXT) | instid1(VALU_DEP_4)
	v_fmac_f32_e32 v73, 0x3e9e377a, v65
	v_fmac_f32_e32 v7, -0.5, v70
	s_delay_alu instid0(VALU_DEP_1) | instskip(SKIP_1) | instid1(VALU_DEP_2)
	v_fmamk_f32 v65, v64, 0xbf737871, v7
	v_dual_fmac_f32 v7, 0x3f737871, v64 :: v_dual_add_f32 v64, v30, v18
	v_dual_sub_f32 v60, v60, v62 :: v_dual_fmac_f32 v65, 0x3f167918, v63
	s_delay_alu instid0(VALU_DEP_2) | instskip(NEXT) | instid1(VALU_DEP_3)
	v_fmac_f32_e32 v7, 0xbf167918, v63
	v_dual_add_f32 v63, v18, v8 :: v_dual_add_f32 v62, v64, v61
	s_delay_alu instid0(VALU_DEP_3) | instskip(NEXT) | instid1(VALU_DEP_4)
	v_fmamk_f32 v34, v60, 0x3f737871, v31
	v_fmac_f32_e32 v65, 0x3e9e377a, v35
	s_delay_alu instid0(VALU_DEP_4) | instskip(NEXT) | instid1(VALU_DEP_4)
	v_fmac_f32_e32 v7, 0x3e9e377a, v35
	v_dual_fmac_f32 v30, -0.5, v63 :: v_dual_fmac_f32 v31, 0xbf737871, v60
	s_delay_alu instid0(VALU_DEP_4) | instskip(SKIP_2) | instid1(VALU_DEP_4)
	v_dual_add_f32 v53, v62, v19 :: v_dual_fmac_f32 v34, 0x3f167918, v9
	v_dual_sub_f32 v62, v18, v61 :: v_dual_sub_f32 v63, v8, v19
	v_sub_f32_e32 v18, v61, v18
	v_fmamk_f32 v35, v9, 0xbf737871, v30
	v_dual_sub_f32 v19, v19, v8 :: v_dual_fmac_f32 v30, 0x3f737871, v9
	s_delay_alu instid0(VALU_DEP_4) | instskip(SKIP_1) | instid1(VALU_DEP_4)
	v_add_f32_e32 v61, v62, v63
	v_dual_fmac_f32 v31, 0xbf167918, v9 :: v_dual_add_f32 v8, v53, v8
	v_fmac_f32_e32 v35, 0x3f167918, v60
	s_delay_alu instid0(VALU_DEP_4) | instskip(NEXT) | instid1(VALU_DEP_4)
	v_dual_fmac_f32 v30, 0xbf167918, v60 :: v_dual_add_f32 v9, v18, v19
	v_fmac_f32_e32 v34, 0x3e9e377a, v61
	s_delay_alu instid0(VALU_DEP_4) | instskip(NEXT) | instid1(VALU_DEP_3)
	v_fmac_f32_e32 v31, 0x3e9e377a, v61
	v_fmac_f32_e32 v35, 0x3e9e377a, v9
	s_delay_alu instid0(VALU_DEP_4)
	v_fmac_f32_e32 v30, 0x3e9e377a, v9
	ds_store_2addr_b32 v52, v3, v46 offset1:9
	ds_store_2addr_b32 v52, v12, v0 offset0:18 offset1:27
	ds_store_b32 v52, v2 offset:144
	ds_store_2addr_b32 v17, v4, v10 offset1:9
	ds_store_2addr_b32 v17, v16, v1 offset0:18 offset1:27
	ds_store_b32 v17, v14 offset:144
	;; [unrolled: 3-line block ×5, first 2 shown]
	v_add_nc_u32_e32 v0, 0x600, v82
	v_add_nc_u32_e32 v1, 0x800, v82
	global_wb scope:SCOPE_SE
	s_wait_dscnt 0x0
	s_barrier_signal -1
	s_barrier_wait -1
	global_inv scope:SCOPE_SE
	ds_load_2addr_b32 v[52:53], v82 offset1:63
	ds_load_2addr_b32 v[46:47], v82 offset0:126 offset1:225
	ds_load_2addr_b32 v[74:75], v0 offset0:66 offset1:129
	;; [unrolled: 1-line block ×3, first 2 shown]
	v_add_nc_u32_e32 v0, 0xc00, v82
	v_add_nc_u32_e32 v1, 0x1000, v82
	;; [unrolled: 1-line block ×5, first 2 shown]
	ds_load_2addr_b32 v[72:73], v0 offset0:132 offset1:195
	ds_load_2addr_b32 v[62:63], v1 offset0:2 offset1:101
	;; [unrolled: 1-line block ×6, first 2 shown]
	ds_load_b32 v88, v82 offset:5904
                                        ; implicit-def: $vgpr89
	s_and_saveexec_b32 s1, s0
	s_cbranch_execz .LBB0_31
; %bb.30:
	v_add_nc_u32_e32 v0, 0x280, v82
	v_add_nc_u32_e32 v1, 0x9c0, v82
	;; [unrolled: 1-line block ×3, first 2 shown]
	ds_load_2addr_b32 v[34:35], v0 offset0:29 offset1:254
	ds_load_2addr_b32 v[30:31], v1 offset0:15 offset1:240
	;; [unrolled: 1-line block ×3, first 2 shown]
	ds_load_b32 v89, v82 offset:6156
.LBB0_31:
	s_wait_alu 0xfffe
	s_or_b32 exec_lo, exec_lo, s1
	v_subrev_nc_u32_e32 v0, 45, v81
	v_cmp_gt_u32_e64 s1, 45, v81
	v_mov_b32_e32 v1, 0
	v_mul_lo_u16 v2, 0x6d, v84
	v_mul_lo_u16 v4, 0x6d, v83
	s_wait_alu 0xf1ff
	v_cndmask_b32_e64 v87, v0, v81, s1
	s_delay_alu instid0(VALU_DEP_3) | instskip(NEXT) | instid1(VALU_DEP_2)
	v_lshrrev_b16 v2, 8, v2
	v_mul_i32_i24_e32 v0, 6, v87
	s_delay_alu instid0(VALU_DEP_2) | instskip(NEXT) | instid1(VALU_DEP_2)
	v_sub_nc_u16 v3, v76, v2
	v_lshlrev_b64_e32 v[0:1], 3, v[0:1]
	s_delay_alu instid0(VALU_DEP_1) | instskip(SKIP_1) | instid1(VALU_DEP_2)
	v_add_co_u32 v0, s1, s8, v0
	s_wait_alu 0xf1ff
	v_add_co_ci_u32_e64 v1, s1, s9, v1, s1
	v_cmp_lt_u32_e64 s1, 44, v81
	s_clause 0x2
	global_load_b128 v[96:99], v[0:1], off offset:336
	global_load_b128 v[100:103], v[0:1], off offset:352
	;; [unrolled: 1-line block ×3, first 2 shown]
	v_lshrrev_b16 v0, 1, v3
	v_lshrrev_b16 v1, 8, v4
	v_mul_lo_u16 v4, 0x6d, v80
	s_wait_alu 0xf1ff
	v_cndmask_b32_e64 v92, 0, 0x4ec, s1
	v_and_b32_e32 v0, 0x7f, v0
	v_sub_nc_u16 v3, v77, v1
	s_delay_alu instid0(VALU_DEP_2) | instskip(NEXT) | instid1(VALU_DEP_2)
	v_add_nc_u16 v0, v0, v2
	v_lshrrev_b16 v2, 1, v3
	v_lshrrev_b16 v3, 8, v4
	s_delay_alu instid0(VALU_DEP_3) | instskip(NEXT) | instid1(VALU_DEP_3)
	v_lshrrev_b16 v80, 5, v0
	v_and_b32_e32 v0, 0x7f, v2
	s_delay_alu instid0(VALU_DEP_3) | instskip(NEXT) | instid1(VALU_DEP_3)
	v_sub_nc_u16 v2, v78, v3
	v_mul_lo_u16 v4, v80, 45
	s_delay_alu instid0(VALU_DEP_3) | instskip(NEXT) | instid1(VALU_DEP_3)
	v_add_nc_u16 v0, v0, v1
	v_lshrrev_b16 v1, 1, v2
	v_and_b32_e32 v80, 0xffff, v80
	s_delay_alu instid0(VALU_DEP_4) | instskip(NEXT) | instid1(VALU_DEP_4)
	v_sub_nc_u16 v2, v76, v4
	v_lshrrev_b16 v83, 5, v0
	s_delay_alu instid0(VALU_DEP_4) | instskip(NEXT) | instid1(VALU_DEP_3)
	v_and_b32_e32 v0, 0x7f, v1
	v_and_b32_e32 v84, 0xff, v2
	s_delay_alu instid0(VALU_DEP_3) | instskip(SKIP_1) | instid1(VALU_DEP_2)
	v_mul_lo_u16 v1, v83, 45
	v_and_b32_e32 v83, 0xffff, v83
	v_sub_nc_u16 v1, v77, v1
	s_delay_alu instid0(VALU_DEP_1) | instskip(NEXT) | instid1(VALU_DEP_1)
	v_and_b32_e32 v90, 0xff, v1
	v_mul_u32_u24_e32 v1, 6, v90
	v_lshlrev_b32_e32 v90, 2, v90
	s_delay_alu instid0(VALU_DEP_2)
	v_lshlrev_b32_e32 v1, 3, v1
	s_wait_loadcnt_dscnt 0x5
	v_mul_f32_e32 v94, v63, v105
	v_mul_u32_u24_e32 v83, 0x4ec, v83
	v_mul_f32_e32 v105, v43, v105
	v_mul_u32_u24_e32 v93, 0x4ec, v80
	s_wait_dscnt 0x4
	v_mul_f32_e32 v95, v70, v107
	v_mul_f32_e32 v107, v54, v107
	v_add3_u32 v83, 0, v83, v90
	v_mul_f32_e32 v90, v74, v99
	v_mul_f32_e32 v99, v58, v99
	v_add_nc_u16 v0, v0, v3
	v_lshlrev_b32_e32 v87, 2, v87
	v_dual_fmac_f32 v95, v54, v106 :: v_dual_fmac_f32 v94, v43, v104
	v_fmac_f32_e32 v90, v58, v98
	s_delay_alu instid0(VALU_DEP_4) | instskip(NEXT) | instid1(VALU_DEP_4)
	v_lshrrev_b16 v0, 5, v0
	v_add3_u32 v87, 0, v92, v87
	v_mul_f32_e32 v92, v67, v101
	v_mul_f32_e32 v101, v49, v101
	v_fma_f32 v74, v74, v98, -v99
	v_mul_lo_u16 v0, v0, 45
	global_load_b128 v[120:123], v1, s[8:9] offset:336
	v_fma_f32 v67, v67, v100, -v101
	v_sub_nc_u16 v0, v78, v0
	s_delay_alu instid0(VALU_DEP_1) | instskip(NEXT) | instid1(VALU_DEP_1)
	v_and_b32_e32 v91, 0xff, v0
	v_mul_u32_u24_e32 v0, 6, v91
	v_lshl_add_u32 v80, v91, 2, 0
	v_mul_f32_e32 v91, v47, v97
	v_mul_f32_e32 v97, v37, v97
	v_mul_u32_u24_e32 v2, 6, v84
	v_lshlrev_b32_e32 v0, 3, v0
	v_lshlrev_b32_e32 v84, 2, v84
	v_fmac_f32_e32 v91, v37, v96
	v_fma_f32 v96, v47, v96, -v97
	v_lshlrev_b32_e32 v2, 3, v2
	v_fma_f32 v97, v70, v106, -v107
	v_add3_u32 v84, 0, v93, v84
	v_mul_f32_e32 v93, v72, v103
	v_mul_f32_e32 v103, v56, v103
	s_clause 0x7
	global_load_b128 v[108:111], v2, s[8:9] offset:336
	global_load_b128 v[112:115], v2, s[8:9] offset:352
	;; [unrolled: 1-line block ×8, first 2 shown]
	v_dual_fmac_f32 v92, v49, v100 :: v_dual_fmac_f32 v93, v56, v102
	v_fma_f32 v70, v72, v102, -v103
	v_fma_f32 v72, v63, v104, -v105
	v_sub_f32_e32 v47, v96, v97
	global_wb scope:SCOPE_SE
	s_wait_loadcnt_dscnt 0x0
	s_barrier_signal -1
	v_sub_f32_e32 v56, v70, v67
	v_dual_add_f32 v37, v91, v95 :: v_dual_sub_f32 v54, v74, v72
	v_add_f32_e32 v43, v90, v94
	v_add_f32_e32 v49, v92, v93
	s_barrier_wait -1
	global_inv scope:SCOPE_SE
	v_add_f32_e32 v98, v56, v54
	v_dual_sub_f32 v99, v56, v54 :: v_dual_sub_f32 v56, v47, v56
	v_add_f32_e32 v58, v43, v37
	v_sub_f32_e32 v63, v43, v37
	v_sub_f32_e32 v43, v49, v43
	;; [unrolled: 1-line block ×3, first 2 shown]
	s_delay_alu instid0(VALU_DEP_2) | instskip(SKIP_3) | instid1(VALU_DEP_4)
	v_dual_add_f32 v49, v49, v58 :: v_dual_mul_f32 v58, 0x3d64c772, v43
	v_sub_f32_e32 v54, v54, v47
	v_add_f32_e32 v47, v98, v47
	v_mul_f32_e32 v98, 0x3f08b237, v99
	v_fma_f32 v105, 0x3f3bfb3b, v63, -v58
	s_delay_alu instid0(VALU_DEP_4) | instskip(NEXT) | instid1(VALU_DEP_3)
	v_mul_f32_e32 v99, 0xbf5ff5aa, v54
	v_fmamk_f32 v106, v56, 0xbeae86e6, v98
	v_mul_f32_e32 v37, 0x3f4a47b2, v37
	v_fma_f32 v107, 0xbf5ff5aa, v54, -v98
	s_delay_alu instid0(VALU_DEP_3) | instskip(NEXT) | instid1(VALU_DEP_3)
	v_dual_fmac_f32 v106, 0xbee1c552, v47 :: v_dual_add_f32 v103, v38, v49
	v_fmamk_f32 v104, v43, 0x3d64c772, v37
	v_fma_f32 v125, 0xbf3bfb3b, v63, -v37
	s_delay_alu instid0(VALU_DEP_3) | instskip(NEXT) | instid1(VALU_DEP_1)
	v_fmamk_f32 v126, v49, 0xbf955555, v103
	v_dual_fmac_f32 v107, 0xbee1c552, v47 :: v_dual_add_f32 v104, v104, v126
	v_mul_f32_e32 v54, v66, v123
	s_delay_alu instid0(VALU_DEP_1)
	v_fmac_f32_e32 v54, v48, v122
	v_dual_mul_f32 v63, v68, v109 :: v_dual_mul_f32 v98, v75, v111
	v_mul_f32_e32 v38, v50, v109
	v_fma_f32 v124, 0x3eae86e6, v56, -v99
	v_dual_mul_f32 v37, v59, v111 :: v_dual_mul_f32 v58, v65, v17
	v_dual_mul_f32 v99, v64, v113 :: v_dual_mul_f32 v100, v73, v115
	;; [unrolled: 1-line block ×3, first 2 shown]
	v_dual_mul_f32 v49, v57, v115 :: v_dual_fmac_f32 v98, v59, v110
	v_mul_f32_e32 v101, v60, v117
	v_mul_f32_e32 v111, v40, v117
	v_dual_mul_f32 v113, v55, v119 :: v_dual_mul_f32 v56, v69, v121
	v_mul_f32_e32 v115, v51, v121
	v_mul_f32_e32 v119, v45, v17
	;; [unrolled: 1-line block ×3, first 2 shown]
	v_dual_mul_f32 v121, v42, v19 :: v_dual_fmac_f32 v102, v55, v118
	v_dual_mul_f32 v19, v61, v13 :: v_dual_fmac_f32 v56, v51, v120
	;; [unrolled: 1-line block ×3, first 2 shown]
	v_mul_f32_e32 v123, v41, v13
	v_dual_mul_f32 v13, v88, v15 :: v_dual_fmac_f32 v58, v45, v16
	v_mul_f32_e32 v59, v85, v15
	v_fma_f32 v15, v75, v110, -v37
	v_mul_f32_e32 v37, v35, v9
	v_mul_f32_e32 v75, v33, v9
	v_fma_f32 v9, v68, v108, -v38
	v_mul_f32_e32 v38, v30, v11
	v_mul_f32_e32 v68, v28, v11
	v_fma_f32 v11, v60, v116, -v111
	v_dual_fmac_f32 v19, v41, v12 :: v_dual_fmac_f32 v124, 0xbee1c552, v47
	v_mul_f32_e32 v57, v24, v7
	v_add_f32_e32 v105, v105, v126
	v_fmac_f32_e32 v38, v28, v10
	s_delay_alu instid0(VALU_DEP_4)
	v_dual_add_f32 v48, v54, v19 :: v_dual_mul_f32 v43, v31, v5
	v_mul_f32_e32 v47, v26, v7
	v_fma_f32 v7, v64, v112, -v109
	v_dual_mul_f32 v64, v86, v3 :: v_dual_add_f32 v109, v125, v126
	v_dual_fmac_f32 v63, v50, v108 :: v_dual_mul_f32 v108, v29, v5
	v_fma_f32 v5, v73, v114, -v49
	v_dual_mul_f32 v73, v25, v1 :: v_dual_sub_f32 v28, v15, v11
	v_fma_f32 v50, v71, v118, -v113
	v_mul_f32_e32 v49, v27, v1
	v_fmac_f32_e32 v13, v85, v14
	v_mul_f32_e32 v1, v89, v3
	v_fmac_f32_e32 v99, v44, v112
	v_fmac_f32_e32 v17, v42, v18
	;; [unrolled: 1-line block ×3, first 2 shown]
	v_fma_f32 v41, v89, v2, -v64
	v_sub_f32_e32 v24, v104, v106
	v_dual_add_f32 v42, v56, v13 :: v_dual_fmac_f32 v1, v86, v2
	v_add_f32_e32 v2, v106, v104
	v_fmac_f32_e32 v37, v33, v8
	v_fma_f32 v33, v35, v8, -v75
	v_fma_f32 v35, v30, v10, -v68
	v_dual_sub_f32 v30, v5, v7 :: v_dual_fmac_f32 v101, v40, v116
	v_fma_f32 v31, v31, v4, -v108
	v_sub_f32_e32 v10, v109, v124
	v_fma_f32 v40, v26, v6, -v57
	v_sub_f32_e32 v6, v105, v107
	v_dual_fmac_f32 v43, v29, v4 :: v_dual_add_f32 v4, v124, v109
	v_add_f32_e32 v8, v107, v105
	v_dual_sub_f32 v26, v9, v50 :: v_dual_add_f32 v29, v99, v100
	ds_store_2addr_b32 v87, v103, v2 offset1:45
	ds_store_2addr_b32 v87, v4, v6 offset0:90 offset1:135
	ds_store_2addr_b32 v87, v8, v10 offset0:180 offset1:225
	ds_store_b32 v87, v24 offset:1080
	v_add_f32_e32 v10, v30, v28
	v_fmac_f32_e32 v49, v25, v0
	v_dual_add_f32 v25, v63, v102 :: v_dual_sub_f32 v24, v30, v28
	v_fma_f32 v44, v66, v122, -v117
	v_fma_f32 v16, v65, v16, -v119
	;; [unrolled: 1-line block ×4, first 2 shown]
	v_sub_f32_e32 v6, v25, v29
	v_fma_f32 v0, v27, v0, -v73
	v_fma_f32 v3, v69, v120, -v115
	v_sub_f32_e32 v57, v18, v16
	v_fma_f32 v14, v88, v14, -v59
	v_dual_mul_f32 v6, 0x3f4a47b2, v6 :: v_dual_sub_f32 v51, v44, v12
	v_add_f32_e32 v27, v98, v101
	v_dual_add_f32 v55, v58, v17 :: v_dual_mul_f32 v24, 0x3f08b237, v24
	v_add_f32_e32 v10, v10, v26
	s_delay_alu instid0(VALU_DEP_4) | instskip(NEXT) | instid1(VALU_DEP_4)
	v_sub_f32_e32 v60, v57, v51
	v_add_f32_e32 v2, v27, v25
	v_sub_f32_e32 v4, v27, v25
	v_dual_sub_f32 v8, v29, v27 :: v_dual_sub_f32 v45, v3, v14
	v_sub_f32_e32 v27, v28, v26
	v_add_f32_e32 v28, v48, v42
	v_sub_f32_e32 v25, v26, v30
	v_sub_f32_e32 v30, v48, v42
	;; [unrolled: 1-line block ×3, first 2 shown]
	v_add_f32_e32 v2, v29, v2
	v_add_f32_e32 v28, v55, v28
	v_mul_f32_e32 v26, 0x3d64c772, v8
	v_sub_f32_e32 v48, v55, v48
	v_dual_mul_f32 v42, 0x3f4a47b2, v42 :: v_dual_add_f32 v59, v57, v51
	v_dual_fmamk_f32 v8, v8, 0x3d64c772, v6 :: v_dual_sub_f32 v51, v51, v45
	v_add_f32_e32 v39, v39, v2
	v_sub_f32_e32 v57, v45, v57
	v_fma_f32 v26, 0x3f3bfb3b, v4, -v26
	v_fma_f32 v4, 0xbf3bfb3b, v4, -v6
	v_fmamk_f32 v6, v25, 0xbeae86e6, v24
	v_dual_fmamk_f32 v2, v2, 0xbf955555, v39 :: v_dual_add_f32 v45, v59, v45
	v_mul_f32_e32 v59, 0x3f08b237, v60
	v_mul_f32_e32 v60, 0xbf5ff5aa, v51
	s_delay_alu instid0(VALU_DEP_3) | instskip(SKIP_2) | instid1(VALU_DEP_3)
	v_dual_mul_f32 v29, 0xbf5ff5aa, v27 :: v_dual_add_f32 v8, v8, v2
	v_dual_mul_f32 v55, 0x3d64c772, v48 :: v_dual_add_f32 v26, v26, v2
	v_fma_f32 v24, 0xbf5ff5aa, v27, -v24
	v_fma_f32 v25, 0x3eae86e6, v25, -v29
	v_dual_add_f32 v27, v36, v28 :: v_dual_fmac_f32 v6, 0xbee1c552, v10
	s_delay_alu instid0(VALU_DEP_4)
	v_fma_f32 v36, 0x3f3bfb3b, v30, -v55
	v_fma_f32 v30, 0xbf3bfb3b, v30, -v42
	v_fmac_f32_e32 v24, 0xbee1c552, v10
	v_fmac_f32_e32 v25, 0xbee1c552, v10
	v_fmamk_f32 v10, v28, 0xbf955555, v27
	v_fmamk_f32 v29, v48, 0x3d64c772, v42
	v_add_f32_e32 v2, v4, v2
	v_fmamk_f32 v42, v57, 0xbeae86e6, v59
	v_fma_f32 v48, 0xbf5ff5aa, v51, -v59
	v_fma_f32 v51, 0x3eae86e6, v57, -v60
	v_add_f32_e32 v4, v29, v10
	v_add_f32_e32 v28, v36, v10
	;; [unrolled: 1-line block ×3, first 2 shown]
	v_fmac_f32_e32 v42, 0xbee1c552, v45
	v_dual_fmac_f32 v48, 0xbee1c552, v45 :: v_dual_add_f32 v29, v6, v8
	v_dual_fmac_f32 v51, 0xbee1c552, v45 :: v_dual_add_f32 v30, v25, v2
	v_sub_f32_e32 v36, v26, v24
	v_add_f32_e32 v24, v24, v26
	s_delay_alu instid0(VALU_DEP_3)
	v_dual_sub_f32 v2, v2, v25 :: v_dual_add_f32 v25, v51, v10
	v_sub_f32_e32 v6, v8, v6
	v_add_f32_e32 v8, v42, v4
	v_sub_f32_e32 v26, v28, v48
	v_add_f32_e32 v28, v48, v28
	v_sub_f32_e32 v10, v10, v51
	v_sub_f32_e32 v4, v4, v42
	ds_store_2addr_b32 v84, v39, v29 offset1:45
	ds_store_2addr_b32 v84, v30, v36 offset0:90 offset1:135
	ds_store_2addr_b32 v84, v24, v2 offset0:180 offset1:225
	ds_store_b32 v84, v6 offset:1080
	ds_store_2addr_b32 v83, v27, v8 offset1:45
	ds_store_2addr_b32 v83, v25, v26 offset0:90 offset1:135
	ds_store_2addr_b32 v83, v28, v10 offset0:180 offset1:225
	ds_store_b32 v83, v4 offset:1080
	s_and_saveexec_b32 s1, s0
	s_cbranch_execz .LBB0_33
; %bb.32:
	v_dual_add_f32 v2, v37, v1 :: v_dual_sub_f32 v25, v35, v0
	v_add_f32_e32 v4, v43, v47
	v_add_f32_e32 v6, v38, v49
	v_sub_f32_e32 v26, v33, v41
	s_delay_alu instid0(VALU_DEP_2) | instskip(NEXT) | instid1(VALU_DEP_2)
	v_dual_sub_f32 v10, v2, v4 :: v_dual_sub_f32 v27, v4, v6
	v_sub_f32_e32 v28, v25, v26
	s_delay_alu instid0(VALU_DEP_2) | instskip(SKIP_1) | instid1(VALU_DEP_4)
	v_mul_f32_e32 v10, 0x3f4a47b2, v10
	v_sub_f32_e32 v8, v40, v31
	v_dual_mul_f32 v29, 0x3d64c772, v27 :: v_dual_add_f32 v24, v6, v2
	s_delay_alu instid0(VALU_DEP_3) | instskip(SKIP_1) | instid1(VALU_DEP_3)
	v_dual_sub_f32 v2, v6, v2 :: v_dual_fmamk_f32 v27, v27, 0x3d64c772, v10
	v_mul_f32_e32 v6, 0xbf5ff5aa, v28
	v_add_f32_e32 v4, v4, v24
	v_sub_f32_e32 v24, v8, v25
	s_delay_alu instid0(VALU_DEP_4) | instskip(SKIP_1) | instid1(VALU_DEP_4)
	v_fma_f32 v10, 0xbf3bfb3b, v2, -v10
	v_fma_f32 v2, 0x3f3bfb3b, v2, -v29
	v_add_f32_e32 v30, v32, v4
	v_sub_f32_e32 v32, v26, v8
	v_add_f32_e32 v8, v8, v25
	v_mul_f32_e32 v24, 0x3f08b237, v24
	s_delay_alu instid0(VALU_DEP_4) | instskip(NEXT) | instid1(VALU_DEP_4)
	v_fmamk_f32 v4, v4, 0xbf955555, v30
	v_fma_f32 v6, 0x3eae86e6, v32, -v6
	s_delay_alu instid0(VALU_DEP_4) | instskip(NEXT) | instid1(VALU_DEP_4)
	v_add_f32_e32 v8, v8, v26
	v_fma_f32 v25, 0xbf5ff5aa, v28, -v24
	v_fmamk_f32 v24, v32, 0xbeae86e6, v24
	v_add_f32_e32 v10, v10, v4
	v_add_f32_e32 v2, v2, v4
	v_fmac_f32_e32 v6, 0xbee1c552, v8
	v_add_f32_e32 v4, v27, v4
	v_add_nc_u32_e32 v27, 0x1200, v80
	v_fmac_f32_e32 v24, 0xbee1c552, v8
	s_delay_alu instid0(VALU_DEP_4) | instskip(SKIP_2) | instid1(VALU_DEP_4)
	v_dual_fmac_f32 v25, 0xbee1c552, v8 :: v_dual_sub_f32 v8, v10, v6
	v_add_f32_e32 v6, v6, v10
	v_add_nc_u32_e32 v28, 0x1400, v80
	v_add_f32_e32 v10, v24, v4
	s_delay_alu instid0(VALU_DEP_4)
	v_sub_f32_e32 v26, v2, v25
	v_add_f32_e32 v2, v25, v2
	v_sub_f32_e32 v4, v4, v24
	ds_store_2addr_b32 v27, v30, v10 offset0:108 offset1:153
	ds_store_2addr_b32 v28, v6, v26 offset0:70 offset1:115
	;; [unrolled: 1-line block ×3, first 2 shown]
	ds_store_b32 v80, v4 offset:6120
.LBB0_33:
	s_wait_alu 0xfffe
	s_or_b32 exec_lo, exec_lo, s1
	v_add_f32_e32 v2, v96, v97
	v_sub_f32_e32 v10, v90, v94
	v_sub_f32_e32 v24, v93, v92
	v_add_f32_e32 v4, v74, v72
	v_add_f32_e32 v8, v67, v70
	;; [unrolled: 1-line block ×3, first 2 shown]
	v_sub_f32_e32 v7, v98, v101
	v_dual_add_f32 v27, v24, v10 :: v_dual_sub_f32 v6, v91, v95
	v_add_f32_e32 v25, v4, v2
	v_sub_f32_e32 v26, v4, v2
	v_sub_f32_e32 v2, v2, v8
	;; [unrolled: 1-line block ×3, first 2 shown]
	global_wb scope:SCOPE_SE
	s_wait_dscnt 0x0
	v_add_f32_e32 v8, v8, v25
	v_sub_f32_e32 v25, v24, v10
	v_sub_f32_e32 v10, v10, v6
	;; [unrolled: 1-line block ×3, first 2 shown]
	v_add_f32_e32 v6, v27, v6
	v_mul_f32_e32 v2, 0x3f4a47b2, v2
	v_mul_f32_e32 v27, 0x3d64c772, v4
	;; [unrolled: 1-line block ×4, first 2 shown]
	s_barrier_signal -1
	v_fmamk_f32 v4, v4, 0x3d64c772, v2
	v_fma_f32 v27, 0x3f3bfb3b, v26, -v27
	v_fma_f32 v2, 0xbf3bfb3b, v26, -v2
	v_fmamk_f32 v26, v24, 0xbeae86e6, v25
	v_fma_f32 v10, 0xbf5ff5aa, v10, -v25
	v_fma_f32 v24, 0x3eae86e6, v24, -v28
	s_barrier_wait -1
	global_inv scope:SCOPE_SE
	v_fmac_f32_e32 v26, 0xbee1c552, v6
	v_fmac_f32_e32 v10, 0xbee1c552, v6
	;; [unrolled: 1-line block ×3, first 2 shown]
	v_add_f32_e32 v6, v9, v50
	v_dual_sub_f32 v9, v63, v102 :: v_dual_add_f32 v32, v52, v8
	s_delay_alu instid0(VALU_DEP_1) | instskip(NEXT) | instid1(VALU_DEP_1)
	v_fmamk_f32 v8, v8, 0xbf955555, v32
	v_add_f32_e32 v4, v4, v8
	v_add_f32_e32 v25, v27, v8
	v_add_f32_e32 v2, v2, v8
	v_add_f32_e32 v8, v15, v11
	s_delay_alu instid0(VALU_DEP_3) | instskip(SKIP_1) | instid1(VALU_DEP_3)
	v_dual_add_f32 v42, v10, v25 :: v_dual_sub_f32 v45, v25, v10
	v_sub_f32_e32 v10, v100, v99
	v_add_f32_e32 v11, v8, v6
	v_dual_sub_f32 v15, v8, v6 :: v_dual_sub_f32 v6, v6, v5
	s_delay_alu instid0(VALU_DEP_3) | instskip(NEXT) | instid1(VALU_DEP_3)
	v_dual_sub_f32 v8, v5, v8 :: v_dual_add_f32 v25, v10, v7
	v_add_f32_e32 v5, v5, v11
	v_dual_sub_f32 v11, v10, v7 :: v_dual_sub_f32 v10, v9, v10
	v_sub_f32_e32 v7, v7, v9
	s_delay_alu instid0(VALU_DEP_4) | instskip(SKIP_1) | instid1(VALU_DEP_4)
	v_dual_add_f32 v9, v25, v9 :: v_dual_mul_f32 v6, 0x3f4a47b2, v6
	v_mul_f32_e32 v25, 0x3d64c772, v8
	v_dual_mul_f32 v11, 0x3f08b237, v11 :: v_dual_add_f32 v48, v53, v5
	s_delay_alu instid0(VALU_DEP_4) | instskip(NEXT) | instid1(VALU_DEP_4)
	v_mul_f32_e32 v27, 0xbf5ff5aa, v7
	v_fmamk_f32 v8, v8, 0x3d64c772, v6
	s_delay_alu instid0(VALU_DEP_4) | instskip(SKIP_4) | instid1(VALU_DEP_3)
	v_fma_f32 v25, 0x3f3bfb3b, v15, -v25
	v_fma_f32 v6, 0xbf3bfb3b, v15, -v6
	v_fmamk_f32 v15, v10, 0xbeae86e6, v11
	v_fmamk_f32 v5, v5, 0xbf955555, v48
	v_fma_f32 v7, 0xbf5ff5aa, v7, -v11
	v_dual_fmac_f32 v15, 0xbee1c552, v9 :: v_dual_sub_f32 v36, v4, v26
	s_delay_alu instid0(VALU_DEP_3) | instskip(NEXT) | instid1(VALU_DEP_3)
	v_add_f32_e32 v11, v25, v5
	v_fmac_f32_e32 v7, 0xbee1c552, v9
	v_sub_f32_e32 v39, v2, v24
	v_dual_add_f32 v51, v26, v4 :: v_dual_sub_f32 v4, v56, v13
	s_delay_alu instid0(VALU_DEP_3) | instskip(SKIP_4) | instid1(VALU_DEP_4)
	v_sub_f32_e32 v57, v11, v7
	v_fma_f32 v10, 0x3eae86e6, v10, -v27
	v_add_f32_e32 v55, v7, v11
	v_dual_sub_f32 v7, v54, v19 :: v_dual_add_f32 v50, v24, v2
	v_dual_add_f32 v2, v3, v14 :: v_dual_add_f32 v3, v44, v12
	v_dual_fmac_f32 v10, 0xbee1c552, v9 :: v_dual_sub_f32 v9, v17, v58
	v_add_f32_e32 v8, v8, v5
	v_add_f32_e32 v5, v6, v5
	s_delay_alu instid0(VALU_DEP_4) | instskip(SKIP_4) | instid1(VALU_DEP_4)
	v_add_f32_e32 v11, v3, v2
	v_add_f32_e32 v6, v16, v18
	v_dual_sub_f32 v12, v3, v2 :: v_dual_add_f32 v13, v9, v7
	v_sub_f32_e32 v52, v8, v15
	v_add_f32_e32 v62, v15, v8
	v_sub_f32_e32 v2, v2, v6
	v_sub_f32_e32 v3, v6, v3
	v_add_f32_e32 v61, v10, v5
	v_sub_f32_e32 v53, v5, v10
	v_add_nc_u32_e32 v10, 0x1200, v82
	v_mul_f32_e32 v2, 0x3f4a47b2, v2
	v_add_f32_e32 v6, v6, v11
	v_sub_f32_e32 v11, v9, v7
	v_sub_f32_e32 v9, v4, v9
	v_sub_f32_e32 v7, v7, v4
	v_dual_add_f32 v4, v13, v4 :: v_dual_mul_f32 v13, 0x3d64c772, v3
	s_delay_alu instid0(VALU_DEP_4) | instskip(SKIP_2) | instid1(VALU_DEP_4)
	v_mul_f32_e32 v11, 0x3f08b237, v11
	v_dual_fmamk_f32 v3, v3, 0x3d64c772, v2 :: v_dual_add_f32 v44, v46, v6
	v_add_nc_u32_e32 v16, 0x600, v82
	v_fma_f32 v13, 0x3f3bfb3b, v12, -v13
	s_delay_alu instid0(VALU_DEP_4)
	v_fmamk_f32 v46, v9, 0xbeae86e6, v11
	v_fma_f32 v54, 0xbf5ff5aa, v7, -v11
	v_fmamk_f32 v6, v6, 0xbf955555, v44
	v_mul_f32_e32 v14, 0xbf5ff5aa, v7
	v_add_nc_u32_e32 v7, 0xc00, v82
	v_fmac_f32_e32 v46, 0xbee1c552, v4
	v_add_nc_u32_e32 v17, 0x1000, v82
	v_add_f32_e32 v59, v13, v6
	v_add_f32_e32 v58, v3, v6
	v_fma_f32 v56, 0x3eae86e6, v9, -v14
	v_add_nc_u32_e32 v14, 0xa00, v82
	v_add_nc_u32_e32 v13, 0xe00, v82
	s_delay_alu instid0(VALU_DEP_4) | instskip(NEXT) | instid1(VALU_DEP_4)
	v_dual_sub_f32 v63, v58, v46 :: v_dual_fmac_f32 v54, 0xbee1c552, v4
	v_fmac_f32_e32 v56, 0xbee1c552, v4
	v_add_nc_u32_e32 v4, 0x200, v82
	v_add_f32_e32 v46, v46, v58
	s_delay_alu instid0(VALU_DEP_4) | instskip(SKIP_3) | instid1(VALU_DEP_3)
	v_add_f32_e32 v65, v54, v59
	v_fma_f32 v2, 0xbf3bfb3b, v12, -v2
	v_add_nc_u32_e32 v12, 0x400, v82
	v_sub_f32_e32 v54, v59, v54
	v_add_f32_e32 v60, v2, v6
	v_add_nc_u32_e32 v6, 0x800, v82
	v_add_nc_u32_e32 v15, 0x1400, v82
	ds_load_2addr_b32 v[2:3], v82 offset1:63
	ds_load_2addr_b32 v[4:5], v4 offset0:124 offset1:187
	ds_load_2addr_b32 v[8:9], v6 offset0:118 offset1:181
	;; [unrolled: 1-line block ×6, first 2 shown]
	v_sub_f32_e32 v64, v60, v56
	v_add_f32_e32 v56, v56, v60
	ds_load_2addr_b32 v[12:13], v82 offset0:126 offset1:189
	ds_load_2addr_b32 v[26:27], v14 offset0:116 offset1:179
	;; [unrolled: 1-line block ×5, first 2 shown]
	ds_load_b32 v30, v82 offset:6048
	global_wb scope:SCOPE_SE
	s_wait_dscnt 0x0
	s_barrier_signal -1
	s_barrier_wait -1
	global_inv scope:SCOPE_SE
	ds_store_2addr_b32 v87, v32, v36 offset1:45
	ds_store_2addr_b32 v87, v39, v42 offset0:90 offset1:135
	ds_store_2addr_b32 v87, v45, v50 offset0:180 offset1:225
	ds_store_b32 v87, v51 offset:1080
	ds_store_2addr_b32 v84, v48, v52 offset1:45
	ds_store_2addr_b32 v84, v53, v55 offset0:90 offset1:135
	ds_store_2addr_b32 v84, v57, v61 offset0:180 offset1:225
	ds_store_b32 v84, v62 offset:1080
	;; [unrolled: 4-line block ×3, first 2 shown]
	s_and_saveexec_b32 s1, s0
	s_cbranch_execz .LBB0_35
; %bb.34:
	v_dual_add_f32 v32, v33, v41 :: v_dual_add_f32 v31, v31, v40
	v_dual_add_f32 v0, v35, v0 :: v_dual_sub_f32 v1, v37, v1
	s_delay_alu instid0(VALU_DEP_1) | instskip(SKIP_1) | instid1(VALU_DEP_4)
	v_dual_sub_f32 v33, v38, v49 :: v_dual_add_f32 v36, v0, v32
	v_sub_f32_e32 v37, v0, v32
	v_sub_f32_e32 v32, v32, v31
	;; [unrolled: 1-line block ×3, first 2 shown]
	s_delay_alu instid0(VALU_DEP_4) | instskip(NEXT) | instid1(VALU_DEP_3)
	v_add_f32_e32 v31, v31, v36
	v_dual_sub_f32 v35, v47, v43 :: v_dual_mul_f32 v32, 0x3f4a47b2, v32
	s_delay_alu instid0(VALU_DEP_2) | instskip(NEXT) | instid1(VALU_DEP_2)
	v_add_f32_e32 v34, v34, v31
	v_add_f32_e32 v38, v35, v33
	s_delay_alu instid0(VALU_DEP_2) | instskip(SKIP_2) | instid1(VALU_DEP_4)
	v_fmamk_f32 v31, v31, 0xbf955555, v34
	v_dual_sub_f32 v36, v35, v33 :: v_dual_sub_f32 v35, v1, v35
	v_sub_f32_e32 v33, v33, v1
	v_dual_add_f32 v1, v38, v1 :: v_dual_mul_f32 v38, 0x3d64c772, v0
	s_delay_alu instid0(VALU_DEP_3) | instskip(SKIP_1) | instid1(VALU_DEP_4)
	v_mul_f32_e32 v36, 0x3f08b237, v36
	v_fmamk_f32 v0, v0, 0x3d64c772, v32
	v_mul_f32_e32 v39, 0xbf5ff5aa, v33
	v_fma_f32 v32, 0xbf3bfb3b, v37, -v32
	v_fma_f32 v38, 0x3f3bfb3b, v37, -v38
	v_fma_f32 v33, 0xbf5ff5aa, v33, -v36
	v_fmamk_f32 v37, v35, 0xbeae86e6, v36
	v_fma_f32 v35, 0x3eae86e6, v35, -v39
	s_delay_alu instid0(VALU_DEP_4) | instskip(NEXT) | instid1(VALU_DEP_4)
	v_dual_add_f32 v36, v38, v31 :: v_dual_add_nc_u32 v39, 0x1400, v80
	v_fmac_f32_e32 v33, 0xbee1c552, v1
	s_delay_alu instid0(VALU_DEP_1) | instskip(SKIP_4) | instid1(VALU_DEP_2)
	v_add_f32_e32 v38, v33, v36
	v_add_f32_e32 v0, v0, v31
	;; [unrolled: 1-line block ×3, first 2 shown]
	v_fmac_f32_e32 v37, 0xbee1c552, v1
	v_fmac_f32_e32 v35, 0xbee1c552, v1
	v_dual_sub_f32 v1, v0, v37 :: v_dual_add_f32 v0, v37, v0
	s_delay_alu instid0(VALU_DEP_2)
	v_dual_sub_f32 v32, v31, v35 :: v_dual_sub_f32 v33, v36, v33
	v_dual_add_f32 v31, v35, v31 :: v_dual_add_nc_u32 v36, 0x1200, v80
	ds_store_2addr_b32 v36, v34, v1 offset0:108 offset1:153
	ds_store_2addr_b32 v39, v32, v38 offset0:70 offset1:115
	;; [unrolled: 1-line block ×3, first 2 shown]
	ds_store_b32 v80, v0 offset:6120
.LBB0_35:
	s_wait_alu 0xfffe
	s_or_b32 exec_lo, exec_lo, s1
	global_wb scope:SCOPE_SE
	s_wait_dscnt 0x0
	s_barrier_signal -1
	s_barrier_wait -1
	global_inv scope:SCOPE_SE
	s_and_saveexec_b32 s0, vcc_lo
	s_cbranch_execz .LBB0_37
; %bb.36:
	v_dual_mov_b32 v1, 0 :: v_dual_lshlrev_b32 v0, 2, v79
	v_mul_lo_u32 v96, s2, v23
	v_mad_co_u64_u32 v[71:72], null, s2, v22, 0
	v_lshlrev_b64_e32 v[20:21], 3, v[20:21]
	s_delay_alu instid0(VALU_DEP_4) | instskip(SKIP_1) | instid1(VALU_DEP_1)
	v_lshlrev_b64_e32 v[31:32], 3, v[0:1]
	v_lshlrev_b32_e32 v0, 2, v78
	v_lshlrev_b64_e32 v[39:40], 3, v[0:1]
	s_delay_alu instid0(VALU_DEP_3) | instskip(SKIP_1) | instid1(VALU_DEP_4)
	v_add_co_u32 v35, vcc_lo, s8, v31
	s_wait_alu 0xfffd
	v_add_co_ci_u32_e32 v36, vcc_lo, s9, v32, vcc_lo
	s_clause 0x1
	global_load_b128 v[31:34], v[35:36], off offset:2496
	global_load_b128 v[35:38], v[35:36], off offset:2512
	v_add_co_u32 v43, vcc_lo, s8, v39
	s_wait_alu 0xfffd
	v_add_co_ci_u32_e32 v44, vcc_lo, s9, v40, vcc_lo
	s_clause 0x1
	global_load_b128 v[39:42], v[43:44], off offset:2496
	global_load_b128 v[43:46], v[43:44], off offset:2512
	v_lshlrev_b32_e32 v0, 2, v77
	v_add_nc_u32_e32 v23, 0x1000, v82
	v_add_nc_u32_e32 v77, 0x600, v82
	;; [unrolled: 1-line block ×3, first 2 shown]
	s_wait_loadcnt 0x2
	v_mul_f32_e32 v99, v30, v38
	v_lshlrev_b64_e32 v[47:48], 3, v[0:1]
	v_lshlrev_b32_e32 v0, 2, v76
	v_mul_f32_e32 v98, v17, v36
	s_delay_alu instid0(VALU_DEP_3) | instskip(SKIP_1) | instid1(VALU_DEP_4)
	v_add_co_u32 v51, vcc_lo, s8, v47
	s_wait_alu 0xfffd
	v_add_co_ci_u32_e32 v52, vcc_lo, s9, v48, vcc_lo
	v_lshlrev_b64_e32 v[55:56], 3, v[0:1]
	s_clause 0x1
	global_load_b128 v[47:50], v[51:52], off offset:2496
	global_load_b128 v[51:54], v[51:52], off offset:2512
	v_lshlrev_b32_e32 v0, 2, v81
	v_add_co_u32 v59, vcc_lo, s8, v55
	s_wait_alu 0xfffd
	v_add_co_ci_u32_e32 v60, vcc_lo, s9, v56, vcc_lo
	s_delay_alu instid0(VALU_DEP_3)
	v_lshlrev_b64_e32 v[63:64], 3, v[0:1]
	s_clause 0x1
	global_load_b128 v[55:58], v[59:60], off offset:2496
	global_load_b128 v[59:62], v[59:60], off offset:2512
	v_mul_lo_u32 v0, s3, v22
	v_add_nc_u32_e32 v22, 0xc00, v82
	v_add_co_u32 v67, vcc_lo, s8, v63
	s_wait_alu 0xfffd
	v_add_co_ci_u32_e32 v68, vcc_lo, s9, v64, vcc_lo
	s_clause 0x1
	global_load_b128 v[63:66], v[67:68], off offset:2496
	global_load_b128 v[67:70], v[67:68], off offset:2512
	ds_load_b32 v97, v82 offset:6048
	v_add3_u32 v72, v72, v96, v0
	v_mul_f32_e32 v96, v15, v32
	ds_load_2addr_b32 v[73:74], v82 offset0:126 offset1:189
	ds_load_2addr_b32 v[75:76], v22 offset0:114 offset1:177
	;; [unrolled: 1-line block ×4, first 2 shown]
	v_mul_f32_e32 v0, v6, v34
	v_add_nc_u32_e32 v83, 0x200, v82
	v_add_nc_u32_e32 v84, 0xa00, v82
	s_wait_dscnt 0x4
	v_mul_f32_e32 v38, v97, v38
	s_wait_dscnt 0x2
	v_mul_f32_e32 v34, v75, v34
	;; [unrolled: 2-line block ×4, first 2 shown]
	v_fma_f32 v0, v33, v75, -v0
	v_fma_f32 v75, v31, v78, -v96
	;; [unrolled: 1-line block ×4, first 2 shown]
	v_fmac_f32_e32 v34, v6, v33
	v_fmac_f32_e32 v36, v17, v35
	s_wait_loadcnt 0x6
	v_dual_fmac_f32 v32, v15, v31 :: v_dual_mul_f32 v35, v22, v44
	v_sub_f32_e32 v103, v96, v78
	v_add_nc_u32_e32 v86, 0x1400, v82
	v_dual_sub_f32 v99, v75, v96 :: v_dual_add_nc_u32 v88, 0x400, v82
	s_delay_alu instid0(VALU_DEP_4)
	v_dual_fmac_f32 v35, v16, v43 :: v_dual_add_nc_u32 v94, 0x1200, v82
	v_sub_f32_e32 v101, v0, v78
	v_dual_add_f32 v107, v34, v36 :: v_dual_add_nc_u32 v90, 0xe00, v82
	v_sub_f32_e32 v97, v34, v32
	ds_load_2addr_b32 v[79:80], v82 offset1:63
	ds_load_2addr_b32 v[82:83], v83 offset0:124 offset1:187
	ds_load_2addr_b32 v[84:85], v84 offset0:116 offset1:179
	;; [unrolled: 1-line block ×7, first 2 shown]
	v_dual_mul_f32 v23, v29, v46 :: v_dual_fmac_f32 v38, v30, v37
	v_mul_f32_e32 v15, v14, v40
	v_mul_f32_e32 v17, v16, v44
	;; [unrolled: 1-line block ×3, first 2 shown]
	v_add_f32_e32 v44, v75, v96
	v_sub_f32_e32 v102, v75, v0
	v_fma_f32 v77, v39, v77, -v15
	v_dual_sub_f32 v33, v0, v75 :: v_dual_sub_f32 v40, v78, v96
	s_wait_dscnt 0x6
	v_add_f32_e32 v75, v75, v82
	s_wait_dscnt 0x5
	v_mul_f32_e32 v31, v85, v42
	s_wait_dscnt 0x4
	v_mul_f32_e32 v37, v87, v46
	v_fma_f32 v87, v45, v87, -v23
	v_mul_f32_e32 v6, v27, v42
	v_sub_f32_e32 v105, v32, v34
	v_sub_f32_e32 v46, v32, v38
	v_dual_sub_f32 v98, v36, v38 :: v_dual_fmac_f32 v31, v27, v41
	s_delay_alu instid0(VALU_DEP_4)
	v_fma_f32 v6, v41, v85, -v6
	v_fma_f32 v85, v43, v22, -v17
	v_add_f32_e32 v100, v32, v38
	v_add_f32_e32 v32, v4, v32
	v_sub_f32_e32 v42, v34, v36
	v_dual_fmac_f32 v30, v14, v39 :: v_dual_fmac_f32 v37, v29, v45
	v_fma_f32 v14, -0.5, v107, v4
	v_add_f32_e32 v107, v31, v35
	s_wait_loadcnt 0x5
	v_mul_f32_e32 v23, v26, v50
	s_wait_loadcnt 0x4
	v_mul_f32_e32 v27, v28, v54
	v_mul_f32_e32 v29, v19, v52
	s_wait_dscnt 0x3
	v_mul_f32_e32 v39, v89, v48
	v_dual_mul_f32 v41, v86, v54 :: v_dual_mul_f32 v22, v25, v48
	v_mul_f32_e32 v43, v84, v50
	s_wait_dscnt 0x2
	v_mul_f32_e32 v45, v91, v52
	v_fma_f32 v17, -0.5, v44, v82
	v_dual_fmac_f32 v41, v28, v53 :: v_dual_add_f32 v44, v97, v98
	v_add_f32_e32 v48, v102, v103
	v_sub_f32_e32 v97, v77, v87
	v_dual_sub_f32 v102, v77, v6 :: v_dual_sub_f32 v103, v87, v85
	v_fma_f32 v16, -0.5, v100, v4
	v_dual_add_f32 v4, v34, v32 :: v_dual_fmac_f32 v39, v25, v47
	v_sub_f32_e32 v32, v6, v77
	v_add_f32_e32 v34, v77, v87
	v_add_f32_e32 v77, v77, v74
	;; [unrolled: 1-line block ×3, first 2 shown]
	v_sub_f32_e32 v106, v38, v36
	v_dual_add_f32 v40, v33, v40 :: v_dual_fmac_f32 v43, v26, v49
	v_dual_add_f32 v0, v0, v75 :: v_dual_sub_f32 v75, v31, v30
	s_delay_alu instid0(VALU_DEP_3)
	v_add_f32_e32 v50, v105, v106
	v_dual_add_f32 v98, v30, v37 :: v_dual_fmamk_f32 v25, v99, 0xbf737871, v14
	v_sub_f32_e32 v105, v30, v31
	v_fma_f32 v15, -0.5, v104, v82
	v_fma_f32 v86, v53, v86, -v27
	v_fma_f32 v91, v51, v91, -v29
	v_add_f32_e32 v108, v13, v30
	v_sub_f32_e32 v33, v85, v87
	s_wait_loadcnt 0x3
	v_dual_sub_f32 v52, v31, v35 :: v_dual_mul_f32 v53, v88, v56
	v_sub_f32_e32 v82, v35, v37
	v_add_f32_e32 v104, v6, v85
	v_fma_f32 v89, v47, v89, -v22
	v_fma_f32 v84, v49, v84, -v23
	v_fmac_f32_e32 v45, v19, v51
	v_dual_sub_f32 v106, v37, v35 :: v_dual_mul_f32 v19, v24, v56
	v_mul_f32_e32 v47, v9, v58
	s_wait_loadcnt 0x2
	v_mul_f32_e32 v49, v11, v62
	s_wait_dscnt 0x0
	v_dual_mul_f32 v51, v18, v60 :: v_dual_mul_f32 v56, v95, v62
	v_dual_mul_f32 v58, v93, v58 :: v_dual_sub_f32 v111, v43, v39
	v_dual_mul_f32 v60, v90, v60 :: v_dual_sub_f32 v109, v91, v86
	v_dual_fmamk_f32 v22, v101, 0xbf737871, v16 :: v_dual_add_f32 v113, v39, v41
	v_fmac_f32_e32 v16, 0x3f737871, v101
	v_fmamk_f32 v26, v46, 0x3f737871, v15
	v_dual_fmac_f32 v15, 0xbf737871, v46 :: v_dual_sub_f32 v100, v6, v85
	v_dual_add_f32 v75, v75, v82 :: v_dual_add_f32 v0, v78, v0
	v_fmac_f32_e32 v53, v24, v55
	v_fma_f32 v27, -0.5, v98, v13
	v_fma_f32 v29, -0.5, v107, v13
	v_add_f32_e32 v6, v6, v77
	v_sub_f32_e32 v77, v86, v91
	v_dual_add_f32 v13, v31, v108 :: v_dual_add_f32 v78, v102, v103
	v_dual_sub_f32 v98, v39, v41 :: v_dual_fmac_f32 v15, 0xbf167918, v42
	v_sub_f32_e32 v103, v39, v43
	v_dual_add_f32 v39, v12, v39 :: v_dual_sub_f32 v54, v30, v37
	v_fmamk_f32 v23, v42, 0x3f737871, v17
	v_fmac_f32_e32 v17, 0xbf737871, v42
	v_fmac_f32_e32 v14, 0x3f737871, v99
	v_add_f32_e32 v4, v4, v36
	v_add_f32_e32 v62, v32, v33
	v_fma_f32 v28, -0.5, v34, v74
	v_fma_f32 v30, -0.5, v104, v74
	v_add_f32_e32 v74, v105, v106
	v_dual_sub_f32 v36, v89, v84 :: v_dual_fmac_f32 v23, 0xbf167918, v46
	v_dual_add_f32 v82, v84, v91 :: v_dual_fmac_f32 v17, 0x3f167918, v46
	v_dual_sub_f32 v104, v41, v45 :: v_dual_fmamk_f32 v31, v100, 0xbf737871, v27
	v_dual_add_f32 v105, v43, v45 :: v_dual_sub_f32 v106, v89, v86
	v_fmac_f32_e32 v25, 0xbf167918, v101
	v_sub_f32_e32 v107, v84, v91
	v_dual_sub_f32 v108, v84, v89 :: v_dual_fmamk_f32 v33, v97, 0xbf737871, v29
	v_dual_add_f32 v110, v89, v86 :: v_dual_fmac_f32 v27, 0x3f737871, v100
	v_add_f32_e32 v89, v89, v73
	v_dual_sub_f32 v112, v45, v41 :: v_dual_add_f32 v39, v39, v43
	v_fma_f32 v88, v55, v88, -v19
	v_fma_f32 v47, v57, v93, -v47
	;; [unrolled: 1-line block ×4, first 2 shown]
	v_fmac_f32_e32 v56, v11, v61
	v_fmac_f32_e32 v58, v9, v57
	v_dual_fmac_f32 v60, v18, v59 :: v_dual_fmac_f32 v29, 0x3f737871, v97
	v_dual_sub_f32 v102, v43, v45 :: v_dual_add_f32 v19, v96, v0
	s_wait_loadcnt 0x1
	v_mul_f32_e32 v9, v5, v64
	v_mul_f32_e32 v11, v8, v66
	s_wait_loadcnt 0x0
	v_mul_f32_e32 v55, v7, v68
	v_mul_f32_e32 v57, v83, v64
	;; [unrolled: 1-line block ×4, first 2 shown]
	v_dual_mul_f32 v64, v76, v68 :: v_dual_sub_f32 v93, v47, v51
	v_dual_fmac_f32 v26, 0x3f167918, v42 :: v_dual_sub_f32 v95, v47, v88
	v_add_f32_e32 v18, v4, v38
	v_fmamk_f32 v32, v52, 0x3f737871, v28
	v_fmamk_f32 v34, v54, 0x3f737871, v30
	v_dual_add_f32 v0, v85, v6 :: v_dual_fmac_f32 v59, v10, v69
	v_dual_add_f32 v4, v13, v35 :: v_dual_fmac_f32 v61, v8, v65
	;; [unrolled: 1-line block ×3, first 2 shown]
	v_fma_f32 v36, -0.5, v82, v73
	v_dual_add_f32 v68, v103, v104 :: v_dual_fmac_f32 v25, 0x3e9e377a, v50
	v_fma_f32 v35, -0.5, v105, v12
	v_fma_f32 v13, -0.5, v110, v73
	v_dual_add_f32 v38, v84, v89 :: v_dual_fmac_f32 v15, 0x3e9e377a, v48
	v_dual_add_f32 v73, v111, v112 :: v_dual_fmac_f32 v16, 0xbf167918, v99
	v_dual_add_f32 v89, v58, v60 :: v_dual_sub_f32 v42, v88, v47
	v_fmac_f32_e32 v31, 0x3f167918, v97
	v_dual_sub_f32 v43, v49, v51 :: v_dual_mul_f32 v24, v10, v70
	v_dual_sub_f32 v77, v53, v56 :: v_dual_fmac_f32 v22, 0x3f167918, v99
	v_dual_sub_f32 v85, v56, v60 :: v_dual_fmac_f32 v14, 0x3f167918, v101
	v_dual_sub_f32 v103, v60, v56 :: v_dual_add_f32 v46, v47, v51
	v_dual_fmac_f32 v33, 0xbf167918, v100 :: v_dual_sub_f32 v84, v53, v58
	v_dual_fmac_f32 v29, 0x3f167918, v100 :: v_dual_sub_f32 v90, v88, v49
	v_add_f32_e32 v99, v88, v49
	v_dual_sub_f32 v101, v58, v53 :: v_dual_add_f32 v104, v53, v56
	v_dual_add_f32 v88, v88, v80 :: v_dual_add_f32 v53, v3, v53
	v_dual_fmac_f32 v28, 0xbf737871, v52 :: v_dual_fmac_f32 v57, v5, v63
	v_dual_fmac_f32 v30, 0xbf737871, v54 :: v_dual_add_f32 v5, v87, v0
	v_fma_f32 v12, -0.5, v113, v12
	v_sub_f32_e32 v96, v51, v49
	v_fma_f32 v83, v63, v83, -v9
	v_fma_f32 v92, v65, v92, -v11
	;; [unrolled: 1-line block ×4, first 2 shown]
	v_dual_fmac_f32 v64, v7, v67 :: v_dual_fmac_f32 v33, 0x3e9e377a, v74
	v_dual_fmac_f32 v22, 0x3e9e377a, v44 :: v_dual_add_f32 v39, v39, v45
	s_delay_alu instid0(VALU_DEP_2) | instskip(SKIP_1) | instid1(VALU_DEP_3)
	v_dual_add_f32 v4, v4, v37 :: v_dual_sub_f32 v65, v61, v64
	v_fmamk_f32 v7, v98, 0xbf737871, v36
	v_dual_fmamk_f32 v6, v106, 0x3f737871, v35 :: v_dual_add_f32 v39, v41, v39
	v_fmac_f32_e32 v35, 0xbf737871, v106
	v_fmamk_f32 v9, v102, 0x3f737871, v13
	v_fmac_f32_e32 v13, 0xbf737871, v102
	v_fmac_f32_e32 v14, 0x3e9e377a, v50
	v_dual_add_f32 v0, v91, v38 :: v_dual_fmac_f32 v31, 0x3e9e377a, v75
	v_fma_f32 v11, -0.5, v46, v80
	v_fma_f32 v10, -0.5, v89, v3
	;; [unrolled: 1-line block ×3, first 2 shown]
	v_dual_fmac_f32 v36, 0x3f737871, v98 :: v_dual_add_f32 v3, v47, v88
	v_dual_add_f32 v46, v53, v58 :: v_dual_fmac_f32 v35, 0xbf167918, v107
	v_dual_add_f32 v70, v108, v109 :: v_dual_fmac_f32 v17, 0x3e9e377a, v40
	v_dual_sub_f32 v82, v58, v60 :: v_dual_fmac_f32 v27, 0xbf167918, v97
	v_dual_fmac_f32 v16, 0x3e9e377a, v44 :: v_dual_add_f32 v45, v42, v43
	v_dual_fmac_f32 v26, 0x3e9e377a, v48 :: v_dual_add_f32 v63, v101, v103
	v_dual_fmac_f32 v32, 0xbf167918, v54 :: v_dual_sub_f32 v47, v83, v92
	v_dual_fmac_f32 v34, 0x3f167918, v52 :: v_dual_fmac_f32 v13, 0x3f167918, v98
	v_dual_fmac_f32 v30, 0xbf167918, v52 :: v_dual_fmac_f32 v7, 0xbf167918, v102
	v_dual_fmamk_f32 v8, v107, 0xbf737871, v12 :: v_dual_fmamk_f32 v43, v93, 0xbf737871, v37
	v_fmac_f32_e32 v12, 0x3f737871, v107
	v_fma_f32 v38, -0.5, v99, v80
	v_dual_sub_f32 v48, v24, v55 :: v_dual_fmac_f32 v9, 0xbf167918, v98
	v_sub_f32_e32 v58, v57, v59
	v_dual_add_f32 v40, v86, v0 :: v_dual_fmac_f32 v7, 0x3e9e377a, v66
	v_fmamk_f32 v42, v77, 0xbf737871, v11
	v_fmac_f32_e32 v37, 0x3f737871, v93
	v_fmac_f32_e32 v36, 0x3f167918, v102
	v_dual_fmac_f32 v11, 0x3f737871, v77 :: v_dual_add_f32 v0, v51, v3
	v_fmac_f32_e32 v9, 0x3e9e377a, v70
	v_dual_add_f32 v3, v46, v60 :: v_dual_add_f32 v50, v92, v55
	v_fmamk_f32 v41, v90, 0x3f737871, v10
	v_fmac_f32_e32 v34, 0x3e9e377a, v78
	v_fmac_f32_e32 v6, 0x3f167918, v107
	v_fmamk_f32 v44, v82, 0x3f737871, v38
	v_dual_fmac_f32 v38, 0xbf737871, v82 :: v_dual_sub_f32 v67, v64, v59
	v_dual_add_f32 v60, v47, v48 :: v_dual_fmac_f32 v13, 0x3e9e377a, v70
	s_delay_alu instid0(VALU_DEP_2) | instskip(SKIP_4) | instid1(VALU_DEP_3)
	v_dual_fmac_f32 v43, 0x3f167918, v90 :: v_dual_fmac_f32 v38, 0x3f167918, v77
	v_dual_fmac_f32 v37, 0xbf167918, v90 :: v_dual_add_f32 v48, v49, v0
	v_dual_fmac_f32 v11, 0x3f167918, v82 :: v_dual_sub_f32 v0, v57, v61
	v_add_f32_e32 v47, v56, v3
	v_dual_sub_f32 v3, v59, v64 :: v_dual_fmac_f32 v36, 0x3e9e377a, v66
	v_dual_fmac_f32 v11, 0x3e9e377a, v45 :: v_dual_sub_f32 v56, v92, v55
	v_sub_f32_e32 v66, v61, v57
	v_dual_fmac_f32 v28, 0x3f167918, v54 :: v_dual_add_f32 v53, v61, v64
	v_dual_fmac_f32 v30, 0x3e9e377a, v78 :: v_dual_fmac_f32 v43, 0x3e9e377a, v63
	v_fmac_f32_e32 v41, 0x3f167918, v93
	v_dual_fmac_f32 v6, 0x3e9e377a, v68 :: v_dual_fmac_f32 v37, 0x3e9e377a, v63
	v_dual_sub_f32 v63, v92, v83 :: v_dual_fmac_f32 v10, 0xbf737871, v90
	v_fmac_f32_e32 v42, 0xbf167918, v82
	v_add_f32_e32 v66, v66, v67
	v_dual_add_f32 v67, v83, v79 :: v_dual_add_f32 v52, v84, v85
	v_fmac_f32_e32 v27, 0x3e9e377a, v75
	v_dual_fmac_f32 v8, 0x3f167918, v106 :: v_dual_add_f32 v51, v83, v24
	v_fmac_f32_e32 v12, 0xbf167918, v106
	s_delay_alu instid0(VALU_DEP_4)
	v_dual_fmac_f32 v10, 0xbf167918, v93 :: v_dual_add_f32 v67, v92, v67
	v_fmac_f32_e32 v42, 0x3e9e377a, v45
	v_fma_f32 v45, -0.5, v53, v2
	v_add_f32_e32 v0, v0, v3
	v_dual_add_f32 v3, v57, v59 :: v_dual_fmac_f32 v32, 0x3e9e377a, v62
	v_dual_fmac_f32 v35, 0x3e9e377a, v68 :: v_dual_fmac_f32 v28, 0x3e9e377a, v62
	v_fmac_f32_e32 v41, 0x3e9e377a, v52
	v_fma_f32 v46, -0.5, v50, v79
	v_fmac_f32_e32 v10, 0x3e9e377a, v52
	v_fma_f32 v52, -0.5, v51, v79
	v_fma_f32 v51, -0.5, v3, v2
	v_sub_f32_e32 v62, v83, v24
	v_dual_sub_f32 v3, v55, v24 :: v_dual_add_nc_u32 v68, 63, v81
	s_delay_alu instid0(VALU_DEP_3) | instskip(SKIP_1) | instid1(VALU_DEP_4)
	v_dual_add_f32 v2, v2, v57 :: v_dual_fmamk_f32 v53, v56, 0x3f737871, v51
	v_fmamk_f32 v50, v58, 0xbf737871, v46
	v_fmamk_f32 v49, v62, 0x3f737871, v45
	v_fmac_f32_e32 v45, 0xbf737871, v62
	v_fmac_f32_e32 v51, 0xbf737871, v56
	v_mul_hi_u32 v57, 0xa01a01a1, v68
	v_add_f32_e32 v63, v63, v3
	v_mul_hi_u32 v3, 0xa01a01a1, v81
	v_dual_add_f32 v54, v95, v96 :: v_dual_fmac_f32 v29, 0x3e9e377a, v74
	v_dual_fmac_f32 v44, 0xbf167918, v77 :: v_dual_fmac_f32 v53, 0xbf167918, v62
	v_fmac_f32_e32 v51, 0x3f167918, v62
	v_dual_fmac_f32 v50, 0xbf167918, v65 :: v_dual_fmac_f32 v45, 0xbf167918, v56
	v_fmac_f32_e32 v49, 0x3f167918, v56
	v_fmac_f32_e32 v8, 0x3e9e377a, v73
	;; [unrolled: 1-line block ×6, first 2 shown]
	v_sub_nc_u32_e32 v0, v68, v57
	v_sub_nc_u32_e32 v69, v81, v3
	v_fmac_f32_e32 v46, 0x3f167918, v65
	v_dual_fmac_f32 v50, 0x3e9e377a, v60 :: v_dual_add_f32 v55, v55, v67
	s_delay_alu instid0(VALU_DEP_4) | instskip(NEXT) | instid1(VALU_DEP_4)
	v_lshrrev_b32_e32 v0, 1, v0
	v_lshrrev_b32_e32 v69, 1, v69
	s_delay_alu instid0(VALU_DEP_4)
	v_fmac_f32_e32 v46, 0x3e9e377a, v60
	v_fmac_f32_e32 v38, 0x3e9e377a, v54
	v_fmamk_f32 v54, v65, 0xbf737871, v52
	v_add_nc_u32_e32 v0, v0, v57
	v_add_nc_u32_e32 v60, v69, v3
	v_add_f32_e32 v3, v24, v55
	v_lshlrev_b64_e32 v[55:56], 3, v[71:72]
	v_fmac_f32_e32 v52, 0x3f737871, v65
	v_lshrrev_b32_e32 v0, 8, v0
	v_lshrrev_b32_e32 v24, 8, v60
	v_fmac_f32_e32 v54, 0x3f167918, v58
	v_dual_fmac_f32 v12, 0x3e9e377a, v73 :: v_dual_fmac_f32 v53, 0x3e9e377a, v66
	s_delay_alu instid0(VALU_DEP_4) | instskip(NEXT) | instid1(VALU_DEP_4)
	v_mul_u32_u24_e32 v57, 0x13b, v0
	v_mul_u32_u24_e32 v24, 0x13b, v24
	v_add_co_u32 v55, vcc_lo, s6, v55
	s_wait_alu 0xfffd
	v_add_co_ci_u32_e32 v56, vcc_lo, s7, v56, vcc_lo
	v_sub_nc_u32_e32 v57, v68, v57
	v_sub_nc_u32_e32 v24, v81, v24
	v_fmac_f32_e32 v52, 0xbf167918, v58
	v_add_co_u32 v55, vcc_lo, v55, v20
	s_delay_alu instid0(VALU_DEP_4)
	v_mad_u32_u24 v0, 0x627, v0, v57
	v_add_f32_e32 v2, v2, v61
	v_lshlrev_b32_e32 v24, 3, v24
	v_add_nc_u32_e32 v58, 0x7e, v81
	s_wait_alu 0xfffd
	v_add_co_ci_u32_e32 v56, vcc_lo, v56, v21, vcc_lo
	v_add_f32_e32 v2, v2, v64
	v_add_co_u32 v20, vcc_lo, v55, v24
	v_mul_hi_u32 v24, 0xa01a01a1, v58
	s_wait_alu 0xfffd
	v_add_co_ci_u32_e32 v21, vcc_lo, 0, v56, vcc_lo
	v_add_f32_e32 v2, v59, v2
	v_fmac_f32_e32 v54, 0x3e9e377a, v63
	v_dual_fmac_f32 v52, 0x3e9e377a, v63 :: v_dual_fmac_f32 v51, 0x3e9e377a, v66
	s_clause 0x4
	global_store_b64 v[20:21], v[2:3], off
	global_store_b64 v[20:21], v[45:46], off offset:2520
	global_store_b64 v[20:21], v[53:54], off offset:5040
	global_store_b64 v[20:21], v[51:52], off offset:7560
	global_store_b64 v[20:21], v[49:50], off offset:10080
	v_sub_nc_u32_e32 v49, v58, v24
	v_dual_mov_b32 v21, v1 :: v_dual_add_nc_u32 v20, 0x13b, v0
	v_lshlrev_b64_e32 v[2:3], 3, v[0:1]
	v_add_nc_u32_e32 v45, 0x276, v0
	s_delay_alu instid0(VALU_DEP_4)
	v_lshrrev_b32_e32 v51, 1, v49
	v_add_nc_u32_e32 v49, 0x3b1, v0
	v_add_nc_u32_e32 v0, 0x4ec, v0
	v_mov_b32_e32 v46, v1
	v_lshlrev_b64_e32 v[20:21], 3, v[20:21]
	v_add_nc_u32_e32 v24, v51, v24
	v_mov_b32_e32 v50, v1
	v_lshlrev_b64_e32 v[51:52], 3, v[0:1]
	v_add_co_u32 v2, vcc_lo, v55, v2
	s_delay_alu instid0(VALU_DEP_4)
	v_lshrrev_b32_e32 v24, 8, v24
	v_lshlrev_b64_e32 v[45:46], 3, v[45:46]
	s_wait_alu 0xfffd
	v_add_co_ci_u32_e32 v3, vcc_lo, v56, v3, vcc_lo
	v_add_co_u32 v20, vcc_lo, v55, v20
	v_mul_u32_u24_e32 v0, 0x13b, v24
	v_lshlrev_b64_e32 v[49:50], 3, v[49:50]
	v_add_nc_u32_e32 v53, 0xbd, v81
	s_wait_alu 0xfffd
	v_add_co_ci_u32_e32 v21, vcc_lo, v56, v21, vcc_lo
	v_sub_nc_u32_e32 v0, v58, v0
	v_add_co_u32 v45, vcc_lo, v55, v45
	s_wait_alu 0xfffd
	v_add_co_ci_u32_e32 v46, vcc_lo, v56, v46, vcc_lo
	s_delay_alu instid0(VALU_DEP_3)
	v_mad_u32_u24 v0, 0x627, v24, v0
	v_mul_hi_u32 v24, 0xa01a01a1, v53
	v_add_co_u32 v49, vcc_lo, v55, v49
	s_wait_alu 0xfffd
	v_add_co_ci_u32_e32 v50, vcc_lo, v56, v50, vcc_lo
	v_add_co_u32 v51, vcc_lo, v55, v51
	s_wait_alu 0xfffd
	v_add_co_ci_u32_e32 v52, vcc_lo, v56, v52, vcc_lo
	s_clause 0x4
	global_store_b64 v[2:3], v[47:48], off
	global_store_b64 v[20:21], v[10:11], off
	;; [unrolled: 1-line block ×5, first 2 shown]
	v_add_nc_u32_e32 v43, 0xfc, v81
	v_dual_mov_b32 v11, v1 :: v_dual_add_nc_u32 v10, 0x13b, v0
	v_sub_nc_u32_e32 v37, v53, v24
	v_lshlrev_b64_e32 v[2:3], 3, v[0:1]
	v_dual_mov_b32 v21, v1 :: v_dual_add_nc_u32 v20, 0x276, v0
	s_delay_alu instid0(VALU_DEP_4) | instskip(NEXT) | instid1(VALU_DEP_4)
	v_lshlrev_b64_e32 v[10:11], 3, v[10:11]
	v_lshrrev_b32_e32 v41, 1, v37
	v_dual_mov_b32 v38, v1 :: v_dual_add_nc_u32 v37, 0x3b1, v0
	v_add_co_u32 v2, vcc_lo, v55, v2
	v_lshlrev_b64_e32 v[20:21], 3, v[20:21]
	v_add_nc_u32_e32 v0, 0x4ec, v0
	s_wait_alu 0xfffd
	v_add_co_ci_u32_e32 v3, vcc_lo, v56, v3, vcc_lo
	v_add_co_u32 v10, vcc_lo, v55, v10
	v_lshlrev_b64_e32 v[37:38], 3, v[37:38]
	s_wait_alu 0xfffd
	v_add_co_ci_u32_e32 v11, vcc_lo, v56, v11, vcc_lo
	v_add_nc_u32_e32 v24, v41, v24
	v_add_co_u32 v20, vcc_lo, v55, v20
	v_lshlrev_b64_e32 v[41:42], 3, v[0:1]
	v_mul_hi_u32 v44, 0xa01a01a1, v43
	s_wait_alu 0xfffd
	v_add_co_ci_u32_e32 v21, vcc_lo, v56, v21, vcc_lo
	v_add_co_u32 v37, vcc_lo, v55, v37
	v_lshrrev_b32_e32 v24, 8, v24
	s_wait_alu 0xfffd
	v_add_co_ci_u32_e32 v38, vcc_lo, v56, v38, vcc_lo
	v_add_co_u32 v41, vcc_lo, v55, v41
	s_wait_alu 0xfffd
	v_add_co_ci_u32_e32 v42, vcc_lo, v56, v42, vcc_lo
	s_clause 0x4
	global_store_b64 v[2:3], v[39:40], off
	global_store_b64 v[10:11], v[35:36], off
	;; [unrolled: 1-line block ×5, first 2 shown]
	v_sub_nc_u32_e32 v10, v43, v44
	v_mul_u32_u24_e32 v0, 0x13b, v24
	v_mov_b32_e32 v7, v1
	v_mov_b32_e32 v9, v1
	;; [unrolled: 1-line block ×3, first 2 shown]
	v_lshrrev_b32_e32 v10, 1, v10
	v_sub_nc_u32_e32 v0, v53, v0
	s_delay_alu instid0(VALU_DEP_2) | instskip(NEXT) | instid1(VALU_DEP_2)
	v_add_nc_u32_e32 v12, v10, v44
	v_mad_u32_u24 v0, 0x627, v24, v0
	s_delay_alu instid0(VALU_DEP_2) | instskip(NEXT) | instid1(VALU_DEP_2)
	v_lshrrev_b32_e32 v20, 8, v12
	v_add_nc_u32_e32 v6, 0x13b, v0
	v_lshlrev_b64_e32 v[2:3], 3, v[0:1]
	v_add_nc_u32_e32 v8, 0x276, v0
	v_add_nc_u32_e32 v10, 0x3b1, v0
	;; [unrolled: 1-line block ×3, first 2 shown]
	v_mul_u32_u24_e32 v21, 0x13b, v20
	v_lshlrev_b64_e32 v[6:7], 3, v[6:7]
	v_add_co_u32 v2, vcc_lo, v55, v2
	v_lshlrev_b64_e32 v[8:9], 3, v[8:9]
	v_lshlrev_b64_e32 v[12:13], 3, v[0:1]
	v_sub_nc_u32_e32 v0, v43, v21
	s_wait_alu 0xfffd
	v_add_co_ci_u32_e32 v3, vcc_lo, v56, v3, vcc_lo
	v_add_co_u32 v6, vcc_lo, v55, v6
	v_lshlrev_b64_e32 v[10:11], 3, v[10:11]
	s_wait_alu 0xfffd
	v_add_co_ci_u32_e32 v7, vcc_lo, v56, v7, vcc_lo
	v_add_co_u32 v8, vcc_lo, v55, v8
	v_mad_u32_u24 v0, 0x627, v20, v0
	s_wait_alu 0xfffd
	v_add_co_ci_u32_e32 v9, vcc_lo, v56, v9, vcc_lo
	v_add_co_u32 v10, vcc_lo, v55, v10
	s_wait_alu 0xfffd
	v_add_co_ci_u32_e32 v11, vcc_lo, v56, v11, vcc_lo
	v_dual_mov_b32 v21, v1 :: v_dual_add_nc_u32 v20, 0x13b, v0
	s_clause 0x3
	global_store_b64 v[2:3], v[4:5], off
	global_store_b64 v[6:7], v[33:34], off
	global_store_b64 v[8:9], v[27:28], off
	global_store_b64 v[10:11], v[31:32], off
	v_lshlrev_b64_e32 v[2:3], 3, v[0:1]
	v_dual_mov_b32 v7, v1 :: v_dual_add_nc_u32 v6, 0x276, v0
	v_add_co_u32 v12, vcc_lo, v55, v12
	v_lshlrev_b64_e32 v[4:5], 3, v[20:21]
	v_dual_mov_b32 v9, v1 :: v_dual_add_nc_u32 v8, 0x3b1, v0
	s_wait_alu 0xfffd
	v_add_co_ci_u32_e32 v13, vcc_lo, v56, v13, vcc_lo
	v_add_co_u32 v2, vcc_lo, v55, v2
	v_lshlrev_b64_e32 v[6:7], 3, v[6:7]
	v_add_nc_u32_e32 v0, 0x4ec, v0
	s_wait_alu 0xfffd
	v_add_co_ci_u32_e32 v3, vcc_lo, v56, v3, vcc_lo
	v_add_co_u32 v4, vcc_lo, v55, v4
	v_lshlrev_b64_e32 v[8:9], 3, v[8:9]
	s_wait_alu 0xfffd
	v_add_co_ci_u32_e32 v5, vcc_lo, v56, v5, vcc_lo
	v_add_co_u32 v6, vcc_lo, v55, v6
	v_lshlrev_b64_e32 v[0:1], 3, v[0:1]
	s_wait_alu 0xfffd
	v_add_co_ci_u32_e32 v7, vcc_lo, v56, v7, vcc_lo
	v_add_co_u32 v8, vcc_lo, v55, v8
	s_wait_alu 0xfffd
	v_add_co_ci_u32_e32 v9, vcc_lo, v56, v9, vcc_lo
	v_add_co_u32 v0, vcc_lo, v55, v0
	s_wait_alu 0xfffd
	v_add_co_ci_u32_e32 v1, vcc_lo, v56, v1, vcc_lo
	s_clause 0x5
	global_store_b64 v[12:13], v[29:30], off
	global_store_b64 v[2:3], v[18:19], off
	;; [unrolled: 1-line block ×6, first 2 shown]
.LBB0_37:
	s_nop 0
	s_sendmsg sendmsg(MSG_DEALLOC_VGPRS)
	s_endpgm
	.section	.rodata,"a",@progbits
	.p2align	6, 0x0
	.amdhsa_kernel fft_rtc_back_len1575_factors_3_3_5_7_5_wgs_63_tpt_63_halfLds_sp_op_CI_CI_unitstride_sbrr_dirReg
		.amdhsa_group_segment_fixed_size 0
		.amdhsa_private_segment_fixed_size 0
		.amdhsa_kernarg_size 104
		.amdhsa_user_sgpr_count 2
		.amdhsa_user_sgpr_dispatch_ptr 0
		.amdhsa_user_sgpr_queue_ptr 0
		.amdhsa_user_sgpr_kernarg_segment_ptr 1
		.amdhsa_user_sgpr_dispatch_id 0
		.amdhsa_user_sgpr_private_segment_size 0
		.amdhsa_wavefront_size32 1
		.amdhsa_uses_dynamic_stack 0
		.amdhsa_enable_private_segment 0
		.amdhsa_system_sgpr_workgroup_id_x 1
		.amdhsa_system_sgpr_workgroup_id_y 0
		.amdhsa_system_sgpr_workgroup_id_z 0
		.amdhsa_system_sgpr_workgroup_info 0
		.amdhsa_system_vgpr_workitem_id 0
		.amdhsa_next_free_vgpr 147
		.amdhsa_next_free_sgpr 39
		.amdhsa_reserve_vcc 1
		.amdhsa_float_round_mode_32 0
		.amdhsa_float_round_mode_16_64 0
		.amdhsa_float_denorm_mode_32 3
		.amdhsa_float_denorm_mode_16_64 3
		.amdhsa_fp16_overflow 0
		.amdhsa_workgroup_processor_mode 1
		.amdhsa_memory_ordered 1
		.amdhsa_forward_progress 0
		.amdhsa_round_robin_scheduling 0
		.amdhsa_exception_fp_ieee_invalid_op 0
		.amdhsa_exception_fp_denorm_src 0
		.amdhsa_exception_fp_ieee_div_zero 0
		.amdhsa_exception_fp_ieee_overflow 0
		.amdhsa_exception_fp_ieee_underflow 0
		.amdhsa_exception_fp_ieee_inexact 0
		.amdhsa_exception_int_div_zero 0
	.end_amdhsa_kernel
	.text
.Lfunc_end0:
	.size	fft_rtc_back_len1575_factors_3_3_5_7_5_wgs_63_tpt_63_halfLds_sp_op_CI_CI_unitstride_sbrr_dirReg, .Lfunc_end0-fft_rtc_back_len1575_factors_3_3_5_7_5_wgs_63_tpt_63_halfLds_sp_op_CI_CI_unitstride_sbrr_dirReg
                                        ; -- End function
	.section	.AMDGPU.csdata,"",@progbits
; Kernel info:
; codeLenInByte = 17360
; NumSgprs: 41
; NumVgprs: 147
; ScratchSize: 0
; MemoryBound: 0
; FloatMode: 240
; IeeeMode: 1
; LDSByteSize: 0 bytes/workgroup (compile time only)
; SGPRBlocks: 5
; VGPRBlocks: 18
; NumSGPRsForWavesPerEU: 41
; NumVGPRsForWavesPerEU: 147
; Occupancy: 9
; WaveLimiterHint : 1
; COMPUTE_PGM_RSRC2:SCRATCH_EN: 0
; COMPUTE_PGM_RSRC2:USER_SGPR: 2
; COMPUTE_PGM_RSRC2:TRAP_HANDLER: 0
; COMPUTE_PGM_RSRC2:TGID_X_EN: 1
; COMPUTE_PGM_RSRC2:TGID_Y_EN: 0
; COMPUTE_PGM_RSRC2:TGID_Z_EN: 0
; COMPUTE_PGM_RSRC2:TIDIG_COMP_CNT: 0
	.text
	.p2alignl 7, 3214868480
	.fill 96, 4, 3214868480
	.type	__hip_cuid_28bf9699dbff4491,@object ; @__hip_cuid_28bf9699dbff4491
	.section	.bss,"aw",@nobits
	.globl	__hip_cuid_28bf9699dbff4491
__hip_cuid_28bf9699dbff4491:
	.byte	0                               ; 0x0
	.size	__hip_cuid_28bf9699dbff4491, 1

	.ident	"AMD clang version 19.0.0git (https://github.com/RadeonOpenCompute/llvm-project roc-6.4.0 25133 c7fe45cf4b819c5991fe208aaa96edf142730f1d)"
	.section	".note.GNU-stack","",@progbits
	.addrsig
	.addrsig_sym __hip_cuid_28bf9699dbff4491
	.amdgpu_metadata
---
amdhsa.kernels:
  - .args:
      - .actual_access:  read_only
        .address_space:  global
        .offset:         0
        .size:           8
        .value_kind:     global_buffer
      - .offset:         8
        .size:           8
        .value_kind:     by_value
      - .actual_access:  read_only
        .address_space:  global
        .offset:         16
        .size:           8
        .value_kind:     global_buffer
      - .actual_access:  read_only
        .address_space:  global
        .offset:         24
        .size:           8
        .value_kind:     global_buffer
      - .actual_access:  read_only
        .address_space:  global
        .offset:         32
        .size:           8
        .value_kind:     global_buffer
      - .offset:         40
        .size:           8
        .value_kind:     by_value
      - .actual_access:  read_only
        .address_space:  global
        .offset:         48
        .size:           8
        .value_kind:     global_buffer
      - .actual_access:  read_only
        .address_space:  global
        .offset:         56
        .size:           8
        .value_kind:     global_buffer
      - .offset:         64
        .size:           4
        .value_kind:     by_value
      - .actual_access:  read_only
        .address_space:  global
        .offset:         72
        .size:           8
        .value_kind:     global_buffer
      - .actual_access:  read_only
        .address_space:  global
        .offset:         80
        .size:           8
        .value_kind:     global_buffer
      - .actual_access:  read_only
        .address_space:  global
        .offset:         88
        .size:           8
        .value_kind:     global_buffer
      - .actual_access:  write_only
        .address_space:  global
        .offset:         96
        .size:           8
        .value_kind:     global_buffer
    .group_segment_fixed_size: 0
    .kernarg_segment_align: 8
    .kernarg_segment_size: 104
    .language:       OpenCL C
    .language_version:
      - 2
      - 0
    .max_flat_workgroup_size: 63
    .name:           fft_rtc_back_len1575_factors_3_3_5_7_5_wgs_63_tpt_63_halfLds_sp_op_CI_CI_unitstride_sbrr_dirReg
    .private_segment_fixed_size: 0
    .sgpr_count:     41
    .sgpr_spill_count: 0
    .symbol:         fft_rtc_back_len1575_factors_3_3_5_7_5_wgs_63_tpt_63_halfLds_sp_op_CI_CI_unitstride_sbrr_dirReg.kd
    .uniform_work_group_size: 1
    .uses_dynamic_stack: false
    .vgpr_count:     147
    .vgpr_spill_count: 0
    .wavefront_size: 32
    .workgroup_processor_mode: 1
amdhsa.target:   amdgcn-amd-amdhsa--gfx1201
amdhsa.version:
  - 1
  - 2
...

	.end_amdgpu_metadata
